;; amdgpu-corpus repo=ROCm/rocFFT kind=compiled arch=gfx950 opt=O3
	.text
	.amdgcn_target "amdgcn-amd-amdhsa--gfx950"
	.amdhsa_code_object_version 6
	.protected	bluestein_single_fwd_len686_dim1_sp_op_CI_CI ; -- Begin function bluestein_single_fwd_len686_dim1_sp_op_CI_CI
	.globl	bluestein_single_fwd_len686_dim1_sp_op_CI_CI
	.p2align	8
	.type	bluestein_single_fwd_len686_dim1_sp_op_CI_CI,@function
bluestein_single_fwd_len686_dim1_sp_op_CI_CI: ; @bluestein_single_fwd_len686_dim1_sp_op_CI_CI
; %bb.0:
	s_load_dwordx4 s[16:19], s[0:1], 0x28
	v_mul_u32_u24_e32 v1, 0x53a, v0
	v_add_u32_sdwa v58, s2, v1 dst_sel:DWORD dst_unused:UNUSED_PAD src0_sel:DWORD src1_sel:WORD_1
	v_mov_b32_e32 v59, 0
	s_waitcnt lgkmcnt(0)
	v_cmp_gt_u64_e32 vcc, s[16:17], v[58:59]
	s_and_saveexec_b64 s[2:3], vcc
	s_cbranch_execz .LBB0_2
; %bb.1:
	s_load_dwordx4 s[12:15], s[0:1], 0x18
	s_load_dwordx4 s[8:11], s[0:1], 0x0
	v_mov_b32_e32 v2, s18
	v_mov_b32_e32 v3, s19
	s_mov_b32 s16, 0x3eae86e6
	s_waitcnt lgkmcnt(0)
	s_load_dwordx4 s[4:7], s[14:15], 0x0
	s_mov_b32 s17, 0xbf08b237
	s_load_dwordx4 s[12:15], s[12:13], 0x0
	s_mov_b32 s20, s17
	s_mov_b32 s21, s16
	s_waitcnt lgkmcnt(0)
	v_mad_u64_u32 v[64:65], s[2:3], s6, v58, 0
	v_mad_u64_u32 v[4:5], s[2:3], s14, v58, 0
	v_mov_b32_e32 v6, v65
	v_mad_u64_u32 v[76:77], s[2:3], s7, v58, v[6:7]
	v_mov_b32_e32 v6, v5
	v_mad_u64_u32 v[6:7], s[2:3], s15, v58, v[6:7]
	v_mov_b32_e32 v5, v6
	v_mov_b32_e32 v6, 49
	v_mul_lo_u16_sdwa v1, v1, v6 dst_sel:DWORD dst_unused:UNUSED_PAD src0_sel:WORD_1 src1_sel:DWORD
	v_sub_u16_e32 v72, v0, v1
	v_mad_u64_u32 v[0:1], s[2:3], s12, v72, 0
	v_mov_b32_e32 v6, v1
	v_mad_u64_u32 v[6:7], s[2:3], s13, v72, v[6:7]
	v_mov_b32_e32 v1, v6
	v_lshl_add_u64 v[2:3], v[4:5], 3, v[2:3]
	v_lshl_add_u64 v[2:3], v[0:1], 3, v[2:3]
	v_mov_b32_e32 v77, 0x310
	global_load_dwordx2 v[0:1], v[2:3], off
	v_mad_u64_u32 v[2:3], s[2:3], s12, v77, v[2:3]
	s_mul_i32 s2, s13, 0x310
	s_nop 0
	v_add_u32_e32 v3, s2, v3
	v_lshlrev_b32_e32 v58, 3, v72
	v_mad_u64_u32 v[4:5], s[6:7], s12, v77, v[2:3]
	global_load_dwordx2 v[80:81], v58, s[8:9]
	global_load_dwordx2 v[74:75], v58, s[8:9] offset:784
	global_load_dwordx2 v[70:71], v58, s[8:9] offset:1568
	;; [unrolled: 1-line block ×3, first 2 shown]
	v_add_u32_e32 v5, s2, v5
	v_mad_u64_u32 v[6:7], s[6:7], s12, v77, v[4:5]
	global_load_dwordx2 v[2:3], v[2:3], off
	v_add_u32_e32 v7, s2, v7
	v_mad_u64_u32 v[8:9], s[6:7], s12, v77, v[6:7]
	v_add_u32_e32 v9, s2, v9
	global_load_dwordx2 v[10:11], v[4:5], off
	global_load_dwordx2 v[12:13], v[6:7], off
	global_load_dwordx2 v[14:15], v[8:9], off
	global_load_dwordx2 v[66:67], v58, s[8:9] offset:3136
	v_mad_u64_u32 v[4:5], s[6:7], s12, v77, v[8:9]
	v_add_u32_e32 v5, s2, v5
	global_load_dwordx2 v[6:7], v[4:5], off
	global_load_dwordx2 v[62:63], v58, s[8:9] offset:3920
	v_mad_u64_u32 v[4:5], s[6:7], s12, v77, v[4:5]
	v_lshl_add_u64 v[94:95], s[8:9], 0, v[58:59]
	s_movk_i32 s7, 0x1000
	v_add_co_u32_e32 v96, vcc, s7, v94
	v_add_u32_e32 v5, s2, v5
	s_nop 0
	v_addc_co_u32_e32 v97, vcc, 0, v95, vcc
	v_mov_b32_e32 v59, 0xffffef28
	s_mul_i32 s3, s13, 0xffffef28
	global_load_dwordx2 v[60:61], v[96:97], off offset:608
	global_load_dwordx2 v[8:9], v[4:5], off
	s_sub_i32 s3, s3, s12
	v_mad_u64_u32 v[4:5], s[14:15], s12, v59, v[4:5]
	v_add_u32_e32 v5, s3, v5
	global_load_dwordx2 v[86:87], v58, s[8:9] offset:1176
	global_load_dwordx2 v[90:91], v58, s[8:9] offset:392
	global_load_dwordx2 v[16:17], v[4:5], off
	v_mad_u64_u32 v[4:5], s[14:15], s12, v77, v[4:5]
	v_add_u32_e32 v5, s2, v5
	global_load_dwordx2 v[18:19], v[4:5], off
	global_load_dwordx2 v[88:89], v58, s[8:9] offset:2744
	global_load_dwordx2 v[92:93], v58, s[8:9] offset:1960
	v_mad_u64_u32 v[4:5], s[14:15], s12, v77, v[4:5]
	v_add_u32_e32 v5, s2, v5
	global_load_dwordx2 v[20:21], v[4:5], off
	v_mad_u64_u32 v[4:5], s[14:15], s12, v77, v[4:5]
	v_add_u32_e32 v5, s2, v5
	global_load_dwordx2 v[22:23], v[4:5], off
	global_load_dwordx2 v[84:85], v58, s[8:9] offset:3528
	v_mad_u64_u32 v[4:5], s[8:9], s12, v77, v[4:5]
	v_add_u32_e32 v5, s2, v5
	global_load_dwordx2 v[24:25], v[4:5], off
	global_load_dwordx2 v[78:79], v[96:97], off offset:1000
	global_load_dwordx2 v[82:83], v[96:97], off offset:216
	v_mad_u64_u32 v[4:5], s[8:9], s12, v77, v[4:5]
	v_add_u32_e32 v5, s2, v5
	global_load_dwordx2 v[26:27], v[4:5], off
	v_mad_u64_u32 v[4:5], s[8:9], s12, v77, v[4:5]
	v_add_u32_e32 v5, s2, v5
	global_load_dwordx2 v[4:5], v[4:5], off
	v_add_u32_e32 v108, 0x1000, v58
	v_add_u32_e32 v109, 0xc00, v58
	;; [unrolled: 1-line block ×3, first 2 shown]
	s_mov_b32 s14, 0x3ee1c552
	s_mov_b32 s12, 0x3d64c772
	s_mov_b32 s13, 0x3f4a47b2
	s_mov_b32 s8, 0x3f955555
	s_mov_b32 s2, s13
	s_mov_b32 s3, s12
	s_mov_b32 s6, 0x3f3bfb3b
	s_mov_b32 s18, 0x3f5ff5aa
	s_load_dwordx2 s[0:1], s[0:1], 0x38
	s_waitcnt vmcnt(26)
	v_mul_f32_e32 v28, v1, v81
	v_mul_f32_e32 v29, v0, v81
	v_fmac_f32_e32 v28, v0, v80
	v_fma_f32 v29, v1, v80, -v29
	s_waitcnt vmcnt(22)
	v_mul_f32_e32 v0, v3, v75
	v_mul_f32_e32 v1, v2, v75
	v_fmac_f32_e32 v0, v2, v74
	v_fma_f32 v1, v3, v74, -v1
	ds_write_b64 v58, v[0:1] offset:784
	s_waitcnt vmcnt(21)
	v_mul_f32_e32 v0, v11, v71
	v_mul_f32_e32 v1, v10, v71
	v_fmac_f32_e32 v0, v10, v70
	v_fma_f32 v1, v11, v70, -v1
	ds_write_b64 v58, v[0:1] offset:1568
	;; [unrolled: 6-line block ×5, first 2 shown]
	s_waitcnt vmcnt(14)
	v_mul_f32_e32 v0, v9, v61
	v_mul_f32_e32 v1, v8, v61
	v_fma_f32 v1, v9, v60, -v1
	v_fmac_f32_e32 v0, v8, v60
	ds_write_b64 v58, v[0:1] offset:4704
	s_waitcnt vmcnt(11)
	v_mul_f32_e32 v0, v16, v91
	v_fma_f32 v1, v17, v90, -v0
	v_mul_f32_e32 v0, v17, v91
	v_fmac_f32_e32 v0, v16, v90
	ds_write2_b64 v58, v[28:29], v[0:1] offset1:49
	s_waitcnt vmcnt(10)
	v_mul_f32_e32 v0, v19, v87
	v_mul_f32_e32 v1, v18, v87
	v_fmac_f32_e32 v0, v18, v86
	v_fma_f32 v1, v19, v86, -v1
	ds_write_b64 v58, v[0:1] offset:1176
	s_waitcnt vmcnt(7)
	v_mul_f32_e32 v0, v21, v93
	v_mul_f32_e32 v1, v20, v93
	v_fmac_f32_e32 v0, v20, v92
	v_fma_f32 v1, v21, v92, -v1
	ds_write_b64 v58, v[0:1] offset:1960
	;; [unrolled: 6-line block ×6, first 2 shown]
	s_waitcnt lgkmcnt(0)
	; wave barrier
	s_waitcnt lgkmcnt(0)
	ds_read2_b64 v[2:5], v58 offset0:98 offset1:147
	ds_read2_b64 v[6:9], v108 offset0:76 offset1:125
	;; [unrolled: 1-line block ×4, first 2 shown]
	s_waitcnt lgkmcnt(2)
	v_pk_add_f32 v[0:1], v[4:5], v[8:9]
	v_pk_add_f32 v[18:19], v[2:3], v[6:7]
	v_pk_add_f32 v[20:21], v[2:3], v[6:7] neg_lo:[0,1] neg_hi:[0,1]
	v_pk_add_f32 v[22:23], v[4:5], v[8:9] neg_lo:[0,1] neg_hi:[0,1]
	ds_read2_b64 v[2:5], v110 offset0:38 offset1:87
	ds_read2_b64 v[6:9], v110 offset0:136 offset1:185
	s_waitcnt lgkmcnt(2)
	v_pk_add_f32 v[24:25], v[12:13], v[16:17]
	v_pk_add_f32 v[26:27], v[10:11], v[14:15]
	v_pk_add_f32 v[12:13], v[12:13], v[16:17] neg_lo:[0,1] neg_hi:[0,1]
	v_pk_add_f32 v[10:11], v[10:11], v[14:15] neg_lo:[0,1] neg_hi:[0,1]
	s_waitcnt lgkmcnt(0)
	v_pk_add_f32 v[16:17], v[2:3], v[6:7]
	v_pk_add_f32 v[14:15], v[4:5], v[8:9]
	v_pk_add_f32 v[2:3], v[6:7], v[2:3] neg_lo:[0,1] neg_hi:[0,1]
	v_pk_add_f32 v[6:7], v[8:9], v[4:5] neg_lo:[0,1] neg_hi:[0,1]
	v_mov_b32_e32 v4, v16
	v_mov_b32_e32 v5, v19
	;; [unrolled: 1-line block ×4, first 2 shown]
	v_pk_add_f32 v[8:9], v[4:5], v[8:9] neg_lo:[0,1] neg_hi:[0,1]
	v_pk_add_f32 v[4:5], v[26:27], v[18:19]
	v_mov_b32_e32 v30, v11
	v_pk_add_f32 v[28:29], v[16:17], v[4:5]
	v_mov_b32_e32 v4, v18
	v_mov_b32_e32 v5, v17
	;; [unrolled: 1-line block ×3, first 2 shown]
	v_pk_add_f32 v[16:17], v[4:5], v[16:17] neg_lo:[0,1] neg_hi:[0,1]
	v_mov_b32_e32 v4, v3
	v_mov_b32_e32 v5, v20
	v_mov_b32_e32 v31, v2
	v_pk_add_f32 v[4:5], v[4:5], v[30:31] neg_lo:[0,1] neg_hi:[0,1]
	v_mov_b32_e32 v30, v21
	v_mov_b32_e32 v32, v3
	;; [unrolled: 1-line block ×3, first 2 shown]
	v_pk_add_f32 v[2:3], v[2:3], v[10:11]
	v_pk_add_f32 v[30:31], v[30:31], v[32:33] neg_lo:[0,1] neg_hi:[0,1]
	v_pk_add_f32 v[32:33], v[2:3], v[20:21]
	v_pk_mul_f32 v[34:35], v[4:5], s[20:21]
	v_pk_mul_f32 v[2:3], v[32:33], s[14:15] op_sel_hi:[1,0]
	v_pk_fma_f32 v[4:5], v[30:31], s[16:17], v[34:35]
	v_pk_mul_f32 v[8:9], v[8:9], s[12:13]
	v_pk_add_f32 v[36:37], v[2:3], v[4:5] op_sel:[1,0] op_sel_hi:[0,1]
	ds_read2_b64 v[2:5], v58 offset1:49
	v_pk_fma_f32 v[38:39], v[16:17], s[2:3], v[8:9]
	v_pk_mul_f32 v[16:17], v[16:17], s[2:3]
	s_waitcnt lgkmcnt(0)
	; wave barrier
	s_waitcnt lgkmcnt(0)
	v_pk_add_f32 v[2:3], v[2:3], v[28:29]
	v_pk_add_f32 v[10:11], v[10:11], v[20:21] neg_lo:[0,1] neg_hi:[0,1]
	v_pk_fma_f32 v[28:29], v[28:29], s[8:9], v[2:3] op_sel_hi:[1,0,1] neg_lo:[1,0,0] neg_hi:[1,0,0]
	v_mov_b32_e32 v20, v16
	v_pk_add_f32 v[38:39], v[38:39], v[28:29]
	v_mov_b32_e32 v21, v9
	v_pk_add_f32 v[40:41], v[38:39], v[36:37]
	v_pk_add_f32 v[36:37], v[38:39], v[36:37] neg_lo:[0,1] neg_hi:[0,1]
	v_mul_lo_u16_e32 v38, 7, v72
	v_lshlrev_b32_e32 v111, 3, v38
	v_mov_b32_e32 v38, v40
	v_mov_b32_e32 v39, v37
	ds_write2_b64 v111, v[2:3], v[38:39] offset1:1
	v_pk_add_f32 v[2:3], v[26:27], v[18:19] neg_lo:[0,1] neg_hi:[0,1]
	v_pk_mul_f32 v[18:19], v[30:31], s[16:17]
	v_mov_b32_e32 v9, v17
	v_pk_fma_f32 v[20:21], v[2:3], s[6:7], v[20:21] op_sel_hi:[1,0,1] neg_lo:[1,0,1] neg_hi:[1,0,1]
	v_mov_b32_e32 v26, v35
	v_mov_b32_e32 v27, v18
	v_pk_fma_f32 v[2:3], v[2:3], s[6:7], v[8:9] op_sel_hi:[1,0,1] neg_lo:[0,0,1] neg_hi:[0,0,1]
	v_mov_b32_e32 v8, v19
	v_mov_b32_e32 v9, v34
	v_pk_fma_f32 v[26:27], v[10:11], s[18:19], v[26:27] op_sel_hi:[1,0,1] neg_lo:[1,0,1] neg_hi:[1,0,1]
	v_pk_fma_f32 v[8:9], v[10:11], s[18:19], v[8:9] op_sel_hi:[1,0,1] neg_lo:[0,0,1] neg_hi:[0,0,1]
	v_pk_add_f32 v[20:21], v[20:21], v[28:29]
	v_pk_fma_f32 v[26:27], v[32:33], s[14:15], v[26:27] op_sel_hi:[1,0,1]
	v_pk_add_f32 v[2:3], v[2:3], v[28:29]
	v_pk_fma_f32 v[8:9], v[32:33], s[14:15], v[8:9] op_sel_hi:[1,0,1]
	v_pk_add_f32 v[30:31], v[20:21], v[26:27] op_sel:[0,1] op_sel_hi:[1,0]
	v_pk_add_f32 v[20:21], v[20:21], v[26:27] op_sel:[0,1] op_sel_hi:[1,0] neg_lo:[0,1] neg_hi:[0,1]
	v_pk_add_f32 v[10:11], v[2:3], v[8:9] op_sel:[0,1] op_sel_hi:[1,0] neg_lo:[0,1] neg_hi:[0,1]
	v_pk_add_f32 v[2:3], v[2:3], v[8:9] op_sel:[0,1] op_sel_hi:[1,0]
	v_mov_b32_e32 v8, v30
	v_mov_b32_e32 v9, v21
	;; [unrolled: 1-line block ×6, first 2 shown]
	ds_write2_b64 v111, v[8:9], v[16:17] offset0:2 offset1:3
	ds_write2_b64 v111, v[2:3], v[20:21] offset0:4 offset1:5
	v_pk_add_f32 v[2:3], v[24:25], v[0:1]
	v_mov_b32_e32 v8, v14
	v_mov_b32_e32 v9, v1
	;; [unrolled: 1-line block ×4, first 2 shown]
	v_pk_add_f32 v[2:3], v[14:15], v[2:3]
	v_pk_add_f32 v[8:9], v[8:9], v[10:11] neg_lo:[0,1] neg_hi:[0,1]
	v_mov_b32_e32 v10, v0
	v_mov_b32_e32 v15, v25
	v_pk_add_f32 v[10:11], v[10:11], v[14:15] neg_lo:[0,1] neg_hi:[0,1]
	v_mov_b32_e32 v14, v7
	v_mov_b32_e32 v15, v22
	;; [unrolled: 1-line block ×4, first 2 shown]
	v_pk_add_f32 v[14:15], v[14:15], v[16:17] neg_lo:[0,1] neg_hi:[0,1]
	v_mov_b32_e32 v16, v23
	v_mov_b32_e32 v18, v7
	;; [unrolled: 1-line block ×3, first 2 shown]
	v_pk_add_f32 v[6:7], v[6:7], v[12:13]
	v_pk_add_f32 v[16:17], v[16:17], v[18:19] neg_lo:[0,1] neg_hi:[0,1]
	v_pk_add_f32 v[6:7], v[6:7], v[22:23]
	v_pk_mul_f32 v[14:15], v[14:15], s[20:21]
	v_pk_add_f32 v[4:5], v[4:5], v[2:3]
	v_pk_mul_f32 v[18:19], v[6:7], s[14:15] op_sel_hi:[1,0]
	v_pk_fma_f32 v[20:21], v[16:17], s[16:17], v[14:15]
	v_pk_mul_f32 v[8:9], v[8:9], s[12:13]
	v_pk_add_f32 v[18:19], v[18:19], v[20:21] op_sel:[1,0] op_sel_hi:[0,1]
	v_pk_fma_f32 v[2:3], v[2:3], s[8:9], v[4:5] op_sel_hi:[1,0,1] neg_lo:[1,0,0] neg_hi:[1,0,0]
	v_pk_fma_f32 v[20:21], v[10:11], s[2:3], v[8:9]
	s_mov_b32 s9, 0
	v_pk_add_f32 v[20:21], v[20:21], v[2:3]
	v_mov_b32_e32 v73, s9
	v_pk_add_f32 v[26:27], v[20:21], v[18:19]
	v_pk_add_f32 v[18:19], v[20:21], v[18:19] neg_lo:[0,1] neg_hi:[0,1]
	v_lshl_add_u64 v[20:21], v[72:73], 0, 49
	v_mul_u32_u24_e32 v21, 7, v20
	v_mov_b32_e32 v37, v41
	v_lshlrev_b32_e32 v65, 3, v21
	v_mov_b32_e32 v28, v26
	v_mov_b32_e32 v29, v19
	v_pk_mul_f32 v[10:11], v[10:11], s[2:3]
	ds_write_b64 v111, v[36:37] offset:48
	ds_write2_b64 v65, v[4:5], v[28:29] offset1:1
	v_pk_add_f32 v[0:1], v[24:25], v[0:1] neg_lo:[0,1] neg_hi:[0,1]
	v_pk_add_f32 v[4:5], v[12:13], v[22:23] neg_lo:[0,1] neg_hi:[0,1]
	v_pk_mul_f32 v[12:13], v[16:17], s[16:17]
	v_mov_b32_e32 v16, v10
	v_mov_b32_e32 v17, v9
	;; [unrolled: 1-line block ×3, first 2 shown]
	v_pk_fma_f32 v[16:17], v[0:1], s[6:7], v[16:17] op_sel_hi:[1,0,1] neg_lo:[1,0,1] neg_hi:[1,0,1]
	v_mov_b32_e32 v22, v15
	v_mov_b32_e32 v23, v12
	v_pk_fma_f32 v[0:1], v[0:1], s[6:7], v[8:9] op_sel_hi:[1,0,1] neg_lo:[0,0,1] neg_hi:[0,0,1]
	v_mov_b32_e32 v8, v13
	v_mov_b32_e32 v9, v14
	v_pk_fma_f32 v[22:23], v[4:5], s[18:19], v[22:23] op_sel_hi:[1,0,1] neg_lo:[1,0,1] neg_hi:[1,0,1]
	v_pk_fma_f32 v[4:5], v[4:5], s[18:19], v[8:9] op_sel_hi:[1,0,1] neg_lo:[0,0,1] neg_hi:[0,0,1]
	v_pk_add_f32 v[16:17], v[16:17], v[2:3]
	v_pk_fma_f32 v[22:23], v[6:7], s[14:15], v[22:23] op_sel_hi:[1,0,1]
	v_pk_add_f32 v[0:1], v[0:1], v[2:3]
	v_pk_fma_f32 v[2:3], v[6:7], s[14:15], v[4:5] op_sel_hi:[1,0,1]
	v_pk_add_f32 v[24:25], v[16:17], v[22:23] op_sel:[0,1] op_sel_hi:[1,0]
	v_pk_add_f32 v[16:17], v[16:17], v[22:23] op_sel:[0,1] op_sel_hi:[1,0] neg_lo:[0,1] neg_hi:[0,1]
	v_pk_add_f32 v[4:5], v[0:1], v[2:3] op_sel:[0,1] op_sel_hi:[1,0] neg_lo:[0,1] neg_hi:[0,1]
	v_pk_add_f32 v[0:1], v[0:1], v[2:3] op_sel:[0,1] op_sel_hi:[1,0]
	v_mov_b32_e32 v3, v17
	v_mov_b32_e32 v6, v4
	;; [unrolled: 1-line block ×6, first 2 shown]
	ds_write2_b64 v65, v[0:1], v[16:17] offset0:4 offset1:5
	v_mul_lo_u16_sdwa v0, v20, v4 dst_sel:DWORD dst_unused:UNUSED_PAD src0_sel:BYTE_0 src1_sel:DWORD
	v_sub_u16_sdwa v1, v20, v0 dst_sel:DWORD dst_unused:UNUSED_PAD src0_sel:DWORD src1_sel:BYTE_1
	v_lshrrev_b16_e32 v1, 1, v1
	v_and_b32_e32 v1, 0x7f, v1
	v_add_u16_sdwa v0, v1, v0 dst_sel:DWORD dst_unused:UNUSED_PAD src0_sel:DWORD src1_sel:BYTE_1
	v_lshrrev_b16_e32 v44, 2, v0
	v_mul_lo_u16_e32 v0, 7, v44
	v_sub_u16_e32 v0, v20, v0
	v_and_b32_e32 v45, 0xff, v0
	v_mul_lo_u16_sdwa v4, v72, v4 dst_sel:DWORD dst_unused:UNUSED_PAD src0_sel:BYTE_0 src1_sel:DWORD
	v_mul_u32_u24_e32 v0, 6, v45
	v_sub_u16_sdwa v5, v72, v4 dst_sel:DWORD dst_unused:UNUSED_PAD src0_sel:DWORD src1_sel:BYTE_1
	v_mov_b32_e32 v2, v24
	v_mov_b32_e32 v19, v27
	v_lshlrev_b32_e32 v24, 3, v0
	v_lshrrev_b16_e32 v5, 1, v5
	ds_write2_b64 v65, v[2:3], v[6:7] offset0:2 offset1:3
	ds_write_b64 v65, v[18:19] offset:48
	s_waitcnt lgkmcnt(0)
	; wave barrier
	s_waitcnt lgkmcnt(0)
	global_load_dwordx4 v[0:3], v24, s[10:11] offset:32
	v_and_b32_e32 v5, 0x7f, v5
	v_add_u16_sdwa v4, v5, v4 dst_sel:DWORD dst_unused:UNUSED_PAD src0_sel:DWORD src1_sel:BYTE_1
	v_lshrrev_b16_e32 v73, 2, v4
	v_mul_lo_u16_e32 v4, 7, v73
	v_sub_u16_e32 v4, v72, v4
	v_and_b32_e32 v122, 0xff, v4
	v_mul_u32_u24_e32 v4, 6, v122
	v_lshlrev_b32_e32 v16, 3, v4
	global_load_dwordx4 v[4:7], v16, s[10:11] offset:32
	global_load_dwordx4 v[12:15], v24, s[10:11]
	global_load_dwordx4 v[20:23], v16, s[10:11]
	global_load_dwordx4 v[8:11], v16, s[10:11] offset:16
	global_load_dwordx4 v[28:31], v24, s[10:11] offset:16
	ds_read2_b64 v[16:19], v108 offset0:76 offset1:125
	s_waitcnt vmcnt(5) lgkmcnt(0)
	v_pk_mul_f32 v[24:25], v[18:19], v[2:3] op_sel_hi:[1,0]
	v_mov_b32_e32 v26, v3
	v_pk_fma_f32 v[38:39], v[18:19], v[26:27], v[24:25] op_sel:[0,0,1] op_sel_hi:[1,0,0]
	v_pk_fma_f32 v[36:37], v[18:19], v[26:27], v[24:25] op_sel:[0,0,1] op_sel_hi:[1,0,0] neg_lo:[1,0,0] neg_hi:[1,0,0]
	ds_read2_b64 v[24:27], v58 offset0:98 offset1:147
	s_waitcnt vmcnt(4)
	v_pk_mul_f32 v[18:19], v[16:17], v[6:7] op_sel_hi:[1,0]
	v_mov_b32_e32 v32, v7
	v_pk_fma_f32 v[46:47], v[16:17], v[32:33], v[18:19] op_sel:[0,0,1] op_sel_hi:[1,0,0]
	v_pk_fma_f32 v[50:51], v[16:17], v[32:33], v[18:19] op_sel:[0,0,1] op_sel_hi:[1,0,0] neg_lo:[1,0,0] neg_hi:[1,0,0]
	s_waitcnt vmcnt(3) lgkmcnt(0)
	v_pk_mul_f32 v[16:17], v[26:27], v[12:13] op_sel_hi:[1,0]
	v_mov_b32_e32 v47, v51
	v_pk_fma_f32 v[42:43], v[26:27], v[12:13], v[16:17] op_sel:[0,1,1] op_sel_hi:[1,1,0]
	v_pk_fma_f32 v[40:41], v[26:27], v[12:13], v[16:17] op_sel:[0,1,1] op_sel_hi:[1,1,0] neg_lo:[1,0,0] neg_hi:[1,0,0]
	s_waitcnt vmcnt(2)
	v_pk_mul_f32 v[16:17], v[24:25], v[20:21] op_sel_hi:[1,0]
	v_mov_b32_e32 v48, v23
	v_pk_fma_f32 v[26:27], v[24:25], v[20:21], v[16:17] op_sel:[0,1,1] op_sel_hi:[1,1,0]
	v_pk_fma_f32 v[24:25], v[24:25], v[20:21], v[16:17] op_sel:[0,1,1] op_sel_hi:[1,1,0] neg_lo:[1,0,0] neg_hi:[1,0,0]
	ds_read2_b64 v[32:35], v58 offset0:196 offset1:245
	ds_read2_b64 v[16:19], v110 offset0:136 offset1:185
	v_mov_b32_e32 v27, v25
	v_pk_add_f32 v[54:55], v[26:27], v[46:47]
	v_pk_add_f32 v[56:57], v[26:27], v[46:47] neg_lo:[0,1] neg_hi:[0,1]
	s_waitcnt lgkmcnt(1)
	v_mov_b32_e32 v26, v33
	v_mul_f32_e32 v36, v33, v23
	s_waitcnt lgkmcnt(0)
	v_mov_b32_e32 v33, v17
	s_waitcnt vmcnt(1)
	v_mov_b32_e32 v49, v11
	v_mov_b32_e32 v27, v16
	;; [unrolled: 1-line block ×4, first 2 shown]
	v_pk_mul_f32 v[48:49], v[32:33], v[48:49]
	v_mov_b32_e32 v100, v25
	v_pk_fma_f32 v[52:53], v[26:27], v[46:47], v[48:49] neg_lo:[0,0,1] neg_hi:[0,0,1]
	v_pk_fma_f32 v[98:99], v[26:27], v[22:23], v[48:49]
	ds_read2_b64 v[46:49], v109 offset0:106 offset1:155
	ds_read2_b64 v[24:27], v110 offset0:38 offset1:87
	v_mul_f32_e32 v101, v17, v10
	v_mov_b32_e32 v50, v51
	v_mul_f32_e32 v51, v16, v11
	v_pk_add_f32 v[16:17], v[100:101], v[50:51]
	s_waitcnt lgkmcnt(1)
	v_mov_b32_e32 v50, v47
	v_mul_f32_e32 v39, v47, v5
	s_waitcnt lgkmcnt(0)
	v_mov_b32_e32 v47, v25
	v_mov_b32_e32 v102, v5
	;; [unrolled: 1-line block ×6, first 2 shown]
	v_pk_mul_f32 v[102:103], v[46:47], v[102:103]
	v_fma_f32 v33, v32, v22, -v36
	v_pk_fma_f32 v[100:101], v[50:51], v[100:101], v[102:103] neg_lo:[0,0,1] neg_hi:[0,0,1]
	v_pk_fma_f32 v[50:51], v[50:51], v[4:5], v[102:103]
	v_fma_f32 v46, v46, v4, -v39
	v_mul_f32_e32 v47, v24, v9
	v_mul_f32_e32 v25, v25, v8
	v_mov_b32_e32 v24, v33
	v_mov_b32_e32 v99, v53
	;; [unrolled: 1-line block ×3, first 2 shown]
	v_pk_add_f32 v[24:25], v[24:25], v[46:47]
	v_pk_add_f32 v[102:103], v[98:99], v[50:51]
	v_mov_b32_e32 v32, v17
	v_mov_b32_e32 v47, v46
	;; [unrolled: 1-line block ×3, first 2 shown]
	v_pk_add_f32 v[98:99], v[98:99], v[50:51] neg_lo:[0,1] neg_hi:[0,1]
	v_pk_add_f32 v[32:33], v[32:33], v[46:47] neg_lo:[0,1] neg_hi:[0,1]
	v_mov_b32_e32 v46, v53
	v_mov_b32_e32 v47, v54
	;; [unrolled: 1-line block ×4, first 2 shown]
	v_pk_add_f32 v[46:47], v[50:51], v[46:47]
	v_mov_b32_e32 v50, v56
	v_mov_b32_e32 v51, v99
	v_pk_add_f32 v[100:101], v[50:51], v[32:33] neg_lo:[0,1] neg_hi:[0,1]
	v_mov_b32_e32 v50, v32
	v_mov_b32_e32 v51, v57
	v_pk_add_f32 v[50:51], v[50:51], v[98:99] neg_lo:[0,1] neg_hi:[0,1]
	v_pk_add_f32 v[52:53], v[24:25], v[16:17]
	v_pk_mul_f32 v[104:105], v[50:51], s[20:21]
	v_pk_add_f32 v[50:51], v[98:99], v[32:33]
	v_mov_b32_e32 v25, v53
	v_pk_add_f32 v[106:107], v[50:51], v[56:57]
	v_mov_b32_e32 v50, v46
	v_mov_b32_e32 v51, v54
	v_pk_add_f32 v[112:113], v[50:51], v[24:25] neg_lo:[0,1] neg_hi:[0,1]
	v_mov_b32_e32 v17, v53
	v_pk_add_f32 v[114:115], v[52:53], v[46:47]
	ds_read2_b64 v[50:53], v58 offset1:49
	v_mov_b32_e32 v47, v102
	v_pk_add_f32 v[46:47], v[16:17], v[46:47] neg_lo:[0,1] neg_hi:[0,1]
	v_pk_mul_f32 v[112:113], v[112:113], s[12:13]
	v_pk_fma_f32 v[118:119], v[100:101], s[16:17], v[104:105]
	s_waitcnt lgkmcnt(0)
	v_pk_add_f32 v[50:51], v[50:51], v[114:115]
	v_pk_fma_f32 v[116:117], v[46:47], s[2:3], v[112:113]
	v_pk_fma_f32 v[114:115], v[114:115], s[8:9], v[50:51] op_sel_hi:[1,0,1] neg_lo:[1,0,0] neg_hi:[1,0,0]
	v_pk_fma_f32 v[118:119], v[106:107], s[14:15], v[118:119] op_sel_hi:[1,0,1]
	v_pk_add_f32 v[116:117], v[116:117], v[114:115]
	v_mul_u32_u24_e32 v17, 49, v73
	v_pk_add_f32 v[120:121], v[116:117], v[118:119]
	v_pk_add_f32 v[116:117], v[116:117], v[118:119] neg_lo:[0,1] neg_hi:[0,1]
	v_add_lshl_u32 v73, v17, v122, 3
	v_mov_b32_e32 v17, v54
	v_mov_b32_e32 v25, v102
	;; [unrolled: 1-line block ×5, first 2 shown]
	v_pk_add_f32 v[16:17], v[24:25], v[16:17] neg_lo:[0,1] neg_hi:[0,1]
	v_pk_mul_f32 v[24:25], v[100:101], s[16:17]
	v_pk_mul_f32 v[46:47], v[46:47], s[2:3]
	s_waitcnt lgkmcnt(0)
	; wave barrier
	ds_write2_b64 v73, v[50:51], v[118:119] offset1:7
	v_pk_add_f32 v[32:33], v[98:99], v[56:57] neg_lo:[0,1] neg_hi:[0,1]
	v_mov_b32_e32 v50, v46
	v_mov_b32_e32 v51, v113
	;; [unrolled: 1-line block ×6, first 2 shown]
	v_pk_fma_f32 v[50:51], v[16:17], s[6:7], v[50:51] op_sel_hi:[1,0,1] neg_lo:[1,0,1] neg_hi:[1,0,1]
	v_pk_fma_f32 v[54:55], v[32:33], s[18:19], v[54:55] op_sel_hi:[1,0,1] neg_lo:[1,0,1] neg_hi:[1,0,1]
	;; [unrolled: 1-line block ×4, first 2 shown]
	v_pk_add_f32 v[50:51], v[50:51], v[114:115]
	v_pk_fma_f32 v[54:55], v[106:107], s[14:15], v[54:55] op_sel_hi:[1,0,1]
	v_pk_add_f32 v[16:17], v[16:17], v[114:115]
	v_pk_fma_f32 v[24:25], v[106:107], s[14:15], v[24:25] op_sel_hi:[1,0,1]
	v_pk_add_f32 v[56:57], v[50:51], v[54:55]
	v_pk_add_f32 v[50:51], v[50:51], v[54:55] neg_lo:[0,1] neg_hi:[0,1]
	v_pk_add_f32 v[32:33], v[16:17], v[24:25] neg_lo:[0,1] neg_hi:[0,1]
	v_pk_add_f32 v[16:17], v[16:17], v[24:25]
	v_mov_b32_e32 v25, v51
	v_mov_b32_e32 v47, v17
	;; [unrolled: 1-line block ×6, first 2 shown]
	ds_write2_b64 v73, v[16:17], v[50:51] offset0:28 offset1:35
	v_mul_f32_e32 v17, v35, v15
	ds_write2_b64 v73, v[24:25], v[46:47] offset0:14 offset1:21
	v_mov_b32_e32 v16, v35
	v_mov_b32_e32 v35, v19
	;; [unrolled: 1-line block ×3, first 2 shown]
	s_waitcnt vmcnt(0)
	v_mov_b32_e32 v25, v31
	v_fma_f32 v33, v34, v14, -v17
	v_mul_f32_e32 v17, v49, v1
	v_pk_mul_f32 v[24:25], v[34:35], v[24:25]
	v_mov_b32_e32 v34, v49
	v_mov_b32_e32 v49, v27
	;; [unrolled: 1-line block ×4, first 2 shown]
	v_fma_f32 v36, v48, v0, -v17
	v_mov_b32_e32 v43, v41
	v_mov_b32_e32 v39, v37
	v_mov_b32_e32 v17, v18
	v_mov_b32_e32 v50, v14
	v_mov_b32_e32 v51, v30
	v_pk_mul_f32 v[46:47], v[48:49], v[46:47]
	v_pk_add_f32 v[48:49], v[42:43], v[38:39]
	v_pk_add_f32 v[38:39], v[42:43], v[38:39] neg_lo:[0,1] neg_hi:[0,1]
	v_pk_fma_f32 v[50:51], v[16:17], v[50:51], v[24:25] neg_lo:[0,0,1] neg_hi:[0,0,1]
	v_pk_fma_f32 v[16:17], v[16:17], v[14:15], v[24:25]
	v_mov_b32_e32 v42, v37
	v_mov_b32_e32 v35, v26
	v_mul_f32_e32 v37, v26, v29
	v_mul_f32_e32 v25, v27, v28
	v_mov_b32_e32 v26, v0
	v_mov_b32_e32 v27, v28
	v_mul_f32_e32 v19, v19, v30
	v_mul_f32_e32 v43, v18, v31
	v_mov_b32_e32 v18, v41
	v_pk_fma_f32 v[26:27], v[34:35], v[26:27], v[46:47] neg_lo:[0,0,1] neg_hi:[0,0,1]
	v_pk_fma_f32 v[34:35], v[34:35], v[0:1], v[46:47]
	v_mov_b32_e32 v24, v33
	v_pk_add_f32 v[18:19], v[18:19], v[42:43]
	v_mov_b32_e32 v17, v51
	v_mov_b32_e32 v35, v27
	v_pk_add_f32 v[24:25], v[24:25], v[36:37]
	v_pk_add_f32 v[40:41], v[16:17], v[34:35]
	v_pk_add_f32 v[16:17], v[16:17], v[34:35] neg_lo:[0,1] neg_hi:[0,1]
	v_mov_b32_e32 v32, v19
	v_mov_b32_e32 v35, v36
	;; [unrolled: 1-line block ×3, first 2 shown]
	v_pk_add_f32 v[32:33], v[32:33], v[34:35] neg_lo:[0,1] neg_hi:[0,1]
	v_mov_b32_e32 v34, v51
	v_mov_b32_e32 v35, v48
	;; [unrolled: 1-line block ×4, first 2 shown]
	v_pk_add_f32 v[26:27], v[26:27], v[34:35]
	v_pk_add_f32 v[34:35], v[24:25], v[18:19]
	v_mov_b32_e32 v46, v32
	v_mov_b32_e32 v25, v35
	;; [unrolled: 1-line block ×3, first 2 shown]
	v_pk_add_f32 v[34:35], v[34:35], v[26:27]
	v_mov_b32_e32 v47, v39
	v_pk_add_f32 v[36:37], v[52:53], v[34:35]
	v_mov_b32_e32 v52, v26
	v_mov_b32_e32 v53, v48
	;; [unrolled: 1-line block ×4, first 2 shown]
	v_pk_add_f32 v[46:47], v[46:47], v[16:17] neg_lo:[0,1] neg_hi:[0,1]
	v_pk_add_f32 v[52:53], v[52:53], v[24:25] neg_lo:[0,1] neg_hi:[0,1]
	v_mov_b32_e32 v27, v40
	v_pk_add_f32 v[42:43], v[42:43], v[32:33] neg_lo:[0,1] neg_hi:[0,1]
	v_pk_mul_f32 v[46:47], v[46:47], s[20:21]
	v_pk_add_f32 v[50:51], v[16:17], v[32:33]
	v_pk_add_f32 v[26:27], v[18:19], v[26:27] neg_lo:[0,1] neg_hi:[0,1]
	v_pk_mul_f32 v[52:53], v[52:53], s[12:13]
	v_pk_add_f32 v[50:51], v[50:51], v[38:39]
	v_pk_fma_f32 v[34:35], v[34:35], s[8:9], v[36:37] op_sel_hi:[1,0,1] neg_lo:[1,0,0] neg_hi:[1,0,0]
	v_pk_fma_f32 v[54:55], v[26:27], s[2:3], v[52:53]
	v_pk_fma_f32 v[56:57], v[42:43], s[16:17], v[46:47]
	v_pk_add_f32 v[54:55], v[54:55], v[34:35]
	v_pk_fma_f32 v[56:57], v[50:51], s[14:15], v[56:57] op_sel_hi:[1,0,1]
	v_mul_u32_u24_e32 v17, 49, v44
	v_pk_add_f32 v[98:99], v[54:55], v[56:57]
	v_pk_add_f32 v[54:55], v[54:55], v[56:57] neg_lo:[0,1] neg_hi:[0,1]
	v_mov_b32_e32 v19, v48
	v_mov_b32_e32 v25, v40
	;; [unrolled: 1-line block ×3, first 2 shown]
	v_add_lshl_u32 v112, v17, v45, 3
	v_mov_b32_e32 v44, v98
	v_mov_b32_e32 v45, v55
	;; [unrolled: 1-line block ×3, first 2 shown]
	v_pk_add_f32 v[18:19], v[24:25], v[18:19] neg_lo:[0,1] neg_hi:[0,1]
	v_pk_mul_f32 v[24:25], v[42:43], s[16:17]
	v_pk_mul_f32 v[26:27], v[26:27], s[2:3]
	ds_write_b64 v73, v[116:117] offset:336
	ds_write2_b64 v112, v[36:37], v[44:45] offset1:7
	v_pk_add_f32 v[16:17], v[16:17], v[38:39] neg_lo:[0,1] neg_hi:[0,1]
	v_mov_b32_e32 v32, v26
	v_mov_b32_e32 v33, v53
	;; [unrolled: 1-line block ×6, first 2 shown]
	v_pk_fma_f32 v[32:33], v[18:19], s[6:7], v[32:33] op_sel_hi:[1,0,1] neg_lo:[1,0,1] neg_hi:[1,0,1]
	v_pk_fma_f32 v[36:37], v[16:17], s[18:19], v[36:37] op_sel_hi:[1,0,1] neg_lo:[1,0,1] neg_hi:[1,0,1]
	;; [unrolled: 1-line block ×4, first 2 shown]
	v_pk_add_f32 v[32:33], v[32:33], v[34:35]
	v_pk_fma_f32 v[36:37], v[50:51], s[14:15], v[36:37] op_sel_hi:[1,0,1]
	v_pk_add_f32 v[18:19], v[18:19], v[34:35]
	v_pk_fma_f32 v[16:17], v[50:51], s[14:15], v[16:17] op_sel_hi:[1,0,1]
	v_pk_add_f32 v[38:39], v[32:33], v[36:37]
	v_pk_add_f32 v[32:33], v[32:33], v[36:37] neg_lo:[0,1] neg_hi:[0,1]
	v_pk_add_f32 v[24:25], v[18:19], v[16:17] neg_lo:[0,1] neg_hi:[0,1]
	v_pk_add_f32 v[16:17], v[18:19], v[16:17]
	v_mov_b32_e32 v18, v38
	v_mov_b32_e32 v19, v33
	;; [unrolled: 1-line block ×7, first 2 shown]
	v_mad_u64_u32 v[106:107], s[10:11], v72, 48, s[10:11]
	ds_write2_b64 v112, v[18:19], v[26:27] offset0:14 offset1:21
	ds_write2_b64 v112, v[16:17], v[32:33] offset0:28 offset1:35
	ds_write_b64 v112, v[54:55] offset:336
	s_waitcnt lgkmcnt(0)
	; wave barrier
	s_waitcnt lgkmcnt(0)
	global_load_dwordx4 v[16:19], v[106:107], off offset:368
	global_load_dwordx4 v[32:35], v[106:107], off offset:336
	;; [unrolled: 1-line block ×3, first 2 shown]
	ds_read2_b64 v[36:39], v108 offset0:76 offset1:125
	ds_read2_b64 v[46:49], v58 offset0:98 offset1:147
	s_mov_b64 s[10:11], 0x1570
	s_waitcnt vmcnt(2) lgkmcnt(1)
	v_pk_mul_f32 v[40:41], v[36:37], v[18:19] op_sel_hi:[1,0]
	v_mov_b32_e32 v42, v19
	v_pk_fma_f32 v[54:55], v[36:37], v[42:43], v[40:41] op_sel:[0,0,1] op_sel_hi:[1,0,0]
	v_pk_fma_f32 v[36:37], v[36:37], v[42:43], v[40:41] op_sel:[0,0,1] op_sel_hi:[1,0,0] neg_lo:[1,0,0] neg_hi:[1,0,0]
	s_waitcnt vmcnt(1) lgkmcnt(0)
	v_pk_mul_f32 v[40:41], v[46:47], v[32:33] op_sel_hi:[1,0]
	v_mov_b32_e32 v55, v37
	v_pk_fma_f32 v[42:43], v[46:47], v[32:33], v[40:41] op_sel:[0,1,1] op_sel_hi:[1,1,0]
	v_pk_fma_f32 v[40:41], v[46:47], v[32:33], v[40:41] op_sel:[0,1,1] op_sel_hi:[1,1,0] neg_lo:[1,0,0] neg_hi:[1,0,0]
	ds_read2_b64 v[50:53], v58 offset0:196 offset1:245
	ds_read2_b64 v[44:47], v110 offset0:136 offset1:185
	v_mov_b32_e32 v43, v41
	v_pk_add_f32 v[98:99], v[42:43], v[54:55]
	v_pk_add_f32 v[100:101], v[42:43], v[54:55] neg_lo:[0,1] neg_hi:[0,1]
	s_waitcnt lgkmcnt(1)
	v_mov_b32_e32 v42, v51
	v_mul_f32_e32 v99, v51, v35
	s_waitcnt lgkmcnt(0)
	v_mov_b32_e32 v51, v45
	v_mov_b32_e32 v56, v35
	s_waitcnt vmcnt(0)
	v_mov_b32_e32 v57, v27
	v_mov_b32_e32 v43, v44
	;; [unrolled: 1-line block ×4, first 2 shown]
	v_pk_mul_f32 v[56:57], v[50:51], v[56:57]
	v_mov_b32_e32 v114, v41
	v_pk_fma_f32 v[102:103], v[42:43], v[54:55], v[56:57] neg_lo:[0,0,1] neg_hi:[0,0,1]
	v_pk_fma_f32 v[104:105], v[42:43], v[34:35], v[56:57]
	ds_read2_b64 v[54:57], v109 offset0:106 offset1:155
	ds_read2_b64 v[40:43], v110 offset0:38 offset1:87
	v_mul_f32_e32 v115, v45, v26
	v_mov_b32_e32 v36, v37
	v_mul_f32_e32 v37, v44, v27
	s_waitcnt lgkmcnt(1)
	v_mov_b32_e32 v44, v55
	v_mul_f32_e32 v102, v55, v17
	s_waitcnt lgkmcnt(0)
	v_mov_b32_e32 v55, v41
	v_mov_b32_e32 v116, v17
	;; [unrolled: 1-line block ×3, first 2 shown]
	v_pk_add_f32 v[36:37], v[114:115], v[36:37]
	v_mov_b32_e32 v45, v40
	v_mov_b32_e32 v114, v16
	;; [unrolled: 1-line block ×3, first 2 shown]
	v_pk_mul_f32 v[116:117], v[54:55], v[116:117]
	v_fma_f32 v51, v50, v34, -v99
	v_pk_fma_f32 v[114:115], v[44:45], v[114:115], v[116:117] neg_lo:[0,0,1] neg_hi:[0,0,1]
	v_pk_fma_f32 v[44:45], v[44:45], v[16:17], v[116:117]
	v_fma_f32 v54, v54, v16, -v102
	v_mul_f32_e32 v55, v40, v25
	v_mul_f32_e32 v41, v41, v24
	v_mov_b32_e32 v40, v51
	v_mov_b32_e32 v105, v103
	;; [unrolled: 1-line block ×3, first 2 shown]
	v_pk_add_f32 v[40:41], v[40:41], v[54:55]
	v_pk_add_f32 v[118:119], v[104:105], v[44:45]
	v_mov_b32_e32 v50, v37
	v_mov_b32_e32 v55, v54
	;; [unrolled: 1-line block ×3, first 2 shown]
	v_pk_add_f32 v[44:45], v[104:105], v[44:45] neg_lo:[0,1] neg_hi:[0,1]
	v_pk_add_f32 v[50:51], v[50:51], v[54:55] neg_lo:[0,1] neg_hi:[0,1]
	v_mov_b32_e32 v54, v103
	v_mov_b32_e32 v55, v98
	v_mov_b32_e32 v102, v115
	v_mov_b32_e32 v103, v118
	v_pk_add_f32 v[54:55], v[102:103], v[54:55]
	v_pk_add_f32 v[114:115], v[44:45], v[50:51]
	;; [unrolled: 1-line block ×4, first 2 shown]
	v_mov_b32_e32 v114, v54
	v_mov_b32_e32 v115, v98
	;; [unrolled: 1-line block ×3, first 2 shown]
	v_pk_add_f32 v[122:123], v[114:115], v[40:41] neg_lo:[0,1] neg_hi:[0,1]
	v_mov_b32_e32 v37, v117
	v_pk_add_f32 v[124:125], v[116:117], v[54:55]
	ds_read2_b64 v[114:117], v58 offset1:49
	v_mov_b32_e32 v102, v100
	v_mov_b32_e32 v103, v45
	;; [unrolled: 1-line block ×5, first 2 shown]
	v_pk_add_f32 v[102:103], v[102:103], v[50:51] neg_lo:[0,1] neg_hi:[0,1]
	v_pk_add_f32 v[104:105], v[104:105], v[44:45] neg_lo:[0,1] neg_hi:[0,1]
	;; [unrolled: 1-line block ×3, first 2 shown]
	v_mov_b32_e32 v37, v98
	v_mov_b32_e32 v41, v118
	v_pk_mul_f32 v[104:105], v[104:105], s[20:21]
	v_pk_mul_f32 v[122:123], v[122:123], s[12:13]
	v_mov_b32_e32 v45, v51
	v_pk_add_f32 v[36:37], v[40:41], v[36:37] neg_lo:[0,1] neg_hi:[0,1]
	v_pk_mul_f32 v[40:41], v[102:103], s[16:17]
	v_pk_mul_f32 v[50:51], v[54:55], s[2:3]
	s_waitcnt lgkmcnt(0)
	v_pk_add_f32 v[114:115], v[114:115], v[124:125]
	v_pk_fma_f32 v[126:127], v[54:55], s[2:3], v[122:123]
	v_pk_fma_f32 v[128:129], v[102:103], s[16:17], v[104:105]
	v_pk_add_f32 v[44:45], v[44:45], v[100:101] neg_lo:[0,1] neg_hi:[0,1]
	v_mov_b32_e32 v54, v50
	v_mov_b32_e32 v55, v123
	;; [unrolled: 1-line block ×6, first 2 shown]
	v_pk_fma_f32 v[124:125], v[124:125], s[8:9], v[114:115] op_sel_hi:[1,0,1] neg_lo:[1,0,0] neg_hi:[1,0,0]
	v_pk_fma_f32 v[54:55], v[36:37], s[6:7], v[54:55] op_sel_hi:[1,0,1] neg_lo:[1,0,1] neg_hi:[1,0,1]
	;; [unrolled: 1-line block ×5, first 2 shown]
	v_pk_add_f32 v[126:127], v[126:127], v[124:125]
	v_pk_fma_f32 v[128:129], v[120:121], s[14:15], v[128:129] op_sel_hi:[1,0,1]
	v_pk_add_f32 v[54:55], v[54:55], v[124:125]
	v_pk_fma_f32 v[98:99], v[120:121], s[14:15], v[98:99] op_sel_hi:[1,0,1]
	;; [unrolled: 2-line block ×3, first 2 shown]
	v_pk_add_f32 v[130:131], v[126:127], v[128:129]
	v_pk_add_f32 v[126:127], v[126:127], v[128:129] neg_lo:[0,1] neg_hi:[0,1]
	v_pk_add_f32 v[100:101], v[54:55], v[98:99]
	v_pk_add_f32 v[54:55], v[54:55], v[98:99] neg_lo:[0,1] neg_hi:[0,1]
	v_pk_add_f32 v[44:45], v[36:37], v[40:41] neg_lo:[0,1] neg_hi:[0,1]
	v_pk_add_f32 v[36:37], v[36:37], v[40:41]
	v_mov_b32_e32 v128, v130
	v_mov_b32_e32 v129, v127
	;; [unrolled: 1-line block ×6, first 2 shown]
	s_waitcnt lgkmcnt(0)
	; wave barrier
	ds_write2_b64 v58, v[114:115], v[128:129] offset1:49
	ds_write2_b64 v58, v[36:37], v[54:55] offset0:196 offset1:245
	v_mul_f32_e32 v36, v48, v33
	v_mul_f32_e32 v37, v53, v35
	v_mov_b32_e32 v40, v100
	v_mov_b32_e32 v50, v44
	v_fmac_f32_e32 v36, v49, v32
	v_mov_b32_e32 v44, v49
	v_fma_f32 v49, v52, v34, -v37
	v_mov_b32_e32 v115, v53
	v_mov_b32_e32 v101, v52
	v_mul_f32_e32 v37, v57, v17
	v_mov_b32_e32 v53, v56
	v_mov_b32_e32 v52, v47
	v_mov_b32_e32 v54, v27
	v_mov_b32_e32 v55, v17
	ds_write2_b64 v58, v[40:41], v[50:51] offset0:98 offset1:147
	v_fma_f32 v119, v56, v16, -v37
	v_mov_b32_e32 v51, v57
	v_mul_f32_e32 v120, v38, v19
	v_mov_b32_e32 v50, v46
	v_pk_mul_f32 v[52:53], v[52:53], v[54:55]
	v_mov_b32_e32 v56, v26
	v_mov_b32_e32 v57, v16
	v_fmac_f32_e32 v120, v39, v18
	v_mov_b32_e32 v98, v39
	v_mov_b32_e32 v39, v47
	;; [unrolled: 1-line block ×3, first 2 shown]
	v_pk_fma_f32 v[46:47], v[46:47], v[26:27], v[52:53] neg_lo:[0,0,1] neg_hi:[0,0,1]
	v_pk_fma_f32 v[102:103], v[50:51], v[56:57], v[52:53]
	v_mov_b32_e32 v52, v19
	v_mov_b32_e32 v53, v27
	;; [unrolled: 1-line block ×4, first 2 shown]
	v_pk_mul_f32 v[98:99], v[98:99], v[52:53]
	v_mov_b32_e32 v45, v42
	v_mov_b32_e32 v104, v33
	;; [unrolled: 1-line block ×4, first 2 shown]
	v_pk_fma_f32 v[122:123], v[38:39], v[50:51], v[98:99] neg_lo:[0,0,1] neg_hi:[0,0,1]
	v_pk_fma_f32 v[38:39], v[38:39], v[50:51], v[98:99]
	v_mov_b32_e32 v47, v103
	v_mov_b32_e32 v118, v103
	;; [unrolled: 1-line block ×5, first 2 shown]
	v_pk_mul_f32 v[44:45], v[44:45], v[104:105]
	v_mov_b32_e32 v100, v43
	v_mov_b32_e32 v98, v25
	;; [unrolled: 1-line block ×3, first 2 shown]
	v_pk_fma_f32 v[124:125], v[40:41], v[102:103], v[44:45] neg_lo:[0,0,1] neg_hi:[0,0,1]
	v_pk_fma_f32 v[40:41], v[40:41], v[102:103], v[44:45]
	v_mov_b32_e32 v114, v42
	v_pk_mul_f32 v[44:45], v[100:101], v[98:99]
	v_mov_b32_e32 v100, v24
	v_mov_b32_e32 v101, v34
	v_pk_fma_f32 v[42:43], v[42:43], v[24:25], v[44:45] neg_lo:[0,0,1] neg_hi:[0,0,1]
	v_pk_fma_f32 v[44:45], v[114:115], v[100:101], v[44:45]
	v_mov_b32_e32 v123, v39
	v_mov_b32_e32 v43, v45
	;; [unrolled: 1-line block ×10, first 2 shown]
	v_pk_add_f32 v[38:39], v[38:39], v[40:41] neg_lo:[0,1] neg_hi:[0,1]
	v_add_f32_e32 v45, v36, v120
	v_pk_add_f32 v[36:37], v[36:37], v[120:121] neg_lo:[0,1] neg_hi:[0,1]
	v_pk_add_f32 v[42:43], v[42:43], v[46:47]
	v_add_f32_e32 v46, v49, v119
	v_pk_add_f32 v[48:49], v[48:49], v[118:119] neg_lo:[0,1] neg_hi:[0,1]
	v_mov_b32_e32 v114, v38
	v_mov_b32_e32 v115, v37
	;; [unrolled: 1-line block ×4, first 2 shown]
	v_pk_add_f32 v[40:41], v[124:125], v[122:123]
	v_pk_add_f32 v[114:115], v[114:115], v[118:119] neg_lo:[0,1] neg_hi:[0,1]
	v_mov_b32_e32 v118, v36
	v_pk_add_f32 v[120:121], v[38:39], v[48:49]
	v_mov_b32_e32 v39, v49
	v_pk_add_f32 v[38:39], v[118:119], v[38:39] neg_lo:[0,1] neg_hi:[0,1]
	v_add_f32_e32 v118, v46, v40
	v_mov_b32_e32 v119, v41
	v_add_f32_e32 v123, v43, v45
	v_mov_b32_e32 v122, v42
	v_pk_add_f32 v[118:119], v[118:119], v[122:123]
	v_mov_b32_e32 v127, v131
	v_pk_add_f32 v[116:117], v[116:117], v[118:119]
	v_mov_b32_e32 v44, v42
	v_mov_b32_e32 v47, v41
	ds_write2_b64 v110, v[126:127], v[116:117] offset0:38 offset1:87
	v_pk_fma_f32 v[116:117], v[118:119], s[8:9], v[116:117] op_sel_hi:[1,0,1] neg_lo:[1,0,0] neg_hi:[1,0,0]
	v_pk_add_f32 v[118:119], v[120:121], v[36:37]
	v_pk_add_f32 v[120:121], v[44:45], v[46:47] neg_lo:[0,1] neg_hi:[0,1]
	v_pk_mul_f32 v[114:115], v[114:115], s[20:21]
	v_pk_add_f32 v[122:123], v[40:41], v[42:43] neg_lo:[0,1] neg_hi:[0,1]
	v_pk_mul_f32 v[120:121], v[120:121], s[12:13]
	v_pk_fma_f32 v[126:127], v[38:39], s[16:17], v[114:115]
	v_mov_b32_e32 v47, v43
	v_mov_b32_e32 v41, v45
	v_pk_mul_f32 v[42:43], v[122:123], s[2:3]
	v_pk_mul_f32 v[38:39], v[38:39], s[16:17]
	v_pk_fma_f32 v[124:125], v[122:123], s[2:3], v[120:121]
	v_pk_add_f32 v[40:41], v[46:47], v[40:41] neg_lo:[0,1] neg_hi:[0,1]
	v_pk_add_f32 v[36:37], v[48:49], v[36:37] neg_lo:[0,1] neg_hi:[0,1]
	v_mov_b32_e32 v44, v42
	v_mov_b32_e32 v45, v121
	;; [unrolled: 1-line block ×6, first 2 shown]
	v_pk_fma_f32 v[44:45], v[40:41], s[6:7], v[44:45] op_sel_hi:[1,0,1] neg_lo:[1,0,1] neg_hi:[1,0,1]
	v_pk_fma_f32 v[46:47], v[36:37], s[18:19], v[46:47] op_sel_hi:[1,0,1] neg_lo:[1,0,1] neg_hi:[1,0,1]
	v_pk_fma_f32 v[40:41], v[40:41], s[6:7], v[120:121] op_sel_hi:[1,0,1] neg_lo:[0,0,1] neg_hi:[0,0,1]
	v_pk_fma_f32 v[36:37], v[36:37], s[18:19], v[114:115] op_sel_hi:[1,0,1] neg_lo:[0,0,1] neg_hi:[0,0,1]
	v_pk_add_f32 v[38:39], v[40:41], v[116:117]
	v_pk_fma_f32 v[36:37], v[118:119], s[14:15], v[36:37] op_sel_hi:[1,0,1]
	v_pk_add_f32 v[124:125], v[124:125], v[116:117]
	v_pk_fma_f32 v[126:127], v[118:119], s[14:15], v[126:127] op_sel_hi:[1,0,1]
	;; [unrolled: 2-line block ×3, first 2 shown]
	v_pk_add_f32 v[40:41], v[38:39], v[36:37]
	v_pk_add_f32 v[36:37], v[38:39], v[36:37] neg_lo:[0,1] neg_hi:[0,1]
	v_pk_add_f32 v[128:129], v[124:125], v[126:127] neg_lo:[0,1] neg_hi:[0,1]
	v_pk_add_f32 v[124:125], v[124:125], v[126:127]
	v_pk_add_f32 v[48:49], v[44:45], v[46:47] neg_lo:[0,1] neg_hi:[0,1]
	v_pk_add_f32 v[44:45], v[44:45], v[46:47]
	v_mov_b32_e32 v38, v36
	v_mov_b32_e32 v39, v41
	;; [unrolled: 1-line block ×3, first 2 shown]
	v_mul_hi_i32_i24_e32 v37, 0xffffffd8, v72
	v_mul_i32_i24_e32 v36, 0xffffffd8, v72
	v_mov_b32_e32 v46, v124
	v_mov_b32_e32 v47, v129
	;; [unrolled: 1-line block ×6, first 2 shown]
	v_lshl_add_u64 v[106:107], v[106:107], 0, v[36:37]
	ds_write2_b64 v110, v[46:47], v[122:123] offset0:136 offset1:185
	ds_write2_b64 v109, v[38:39], v[40:41] offset0:106 offset1:155
	ds_write2_b64 v108, v[48:49], v[128:129] offset0:76 offset1:125
	s_waitcnt lgkmcnt(0)
	; wave barrier
	s_waitcnt lgkmcnt(0)
	global_load_dwordx2 v[38:39], v[106:107], off offset:3080
	global_load_dwordx2 v[36:37], v[106:107], off offset:3472
	;; [unrolled: 1-line block ×3, first 2 shown]
	v_add_co_u32_e32 v114, vcc, s7, v106
	s_movk_i32 s7, 0x2000
	s_nop 0
	v_addc_co_u32_e32 v115, vcc, 0, v107, vcc
	global_load_dwordx2 v[44:45], v[114:115], off offset:160
	global_load_dwordx2 v[40:41], v[106:107], off offset:2688
	;; [unrolled: 1-line block ×4, first 2 shown]
	ds_read2_b64 v[114:117], v110 offset0:136 offset1:185
	ds_read2_b64 v[118:121], v109 offset0:106 offset1:155
	s_mov_b32 s14, 0xbeae86e6
	s_mov_b32 s15, 0x3f08b237
	;; [unrolled: 1-line block ×5, first 2 shown]
	s_waitcnt vmcnt(6) lgkmcnt(1)
	v_pk_mul_f32 v[106:107], v[114:115], v[38:39] op_sel:[0,1]
	s_nop 0
	v_pk_fma_f32 v[122:123], v[114:115], v[38:39], v[106:107] op_sel:[0,0,1] op_sel_hi:[1,1,0] neg_lo:[0,0,1] neg_hi:[0,0,1]
	v_pk_fma_f32 v[106:107], v[114:115], v[38:39], v[106:107] op_sel:[0,0,1] op_sel_hi:[1,0,0]
	s_waitcnt vmcnt(5)
	v_pk_mul_f32 v[114:115], v[116:117], v[36:37] op_sel:[0,1]
	s_waitcnt vmcnt(4) lgkmcnt(0)
	v_pk_mul_f32 v[124:125], v[118:119], v[42:43] op_sel:[0,1]
	v_pk_fma_f32 v[128:129], v[116:117], v[36:37], v[114:115] op_sel:[0,0,1] op_sel_hi:[1,1,0] neg_lo:[0,0,1] neg_hi:[0,0,1]
	v_pk_fma_f32 v[130:131], v[116:117], v[36:37], v[114:115] op_sel:[0,0,1] op_sel_hi:[1,0,0]
	ds_read2_b64 v[114:117], v110 offset0:38 offset1:87
	v_pk_fma_f32 v[132:133], v[118:119], v[42:43], v[124:125] op_sel:[0,0,1] op_sel_hi:[1,1,0] neg_lo:[0,0,1] neg_hi:[0,0,1]
	v_pk_fma_f32 v[134:135], v[118:119], v[42:43], v[124:125] op_sel:[0,0,1] op_sel_hi:[1,0,0]
	s_waitcnt vmcnt(3)
	v_pk_mul_f32 v[118:119], v[120:121], v[44:45] op_sel:[0,1]
	v_mov_b32_e32 v123, v107
	v_pk_fma_f32 v[136:137], v[120:121], v[44:45], v[118:119] op_sel:[0,0,1] op_sel_hi:[1,1,0] neg_lo:[0,0,1] neg_hi:[0,0,1]
	v_pk_fma_f32 v[138:139], v[120:121], v[44:45], v[118:119] op_sel:[0,0,1] op_sel_hi:[1,0,0]
	ds_read2_b64 v[118:121], v58 offset1:49
	s_waitcnt vmcnt(2) lgkmcnt(1)
	v_pk_mul_f32 v[124:125], v[116:117], v[40:41] op_sel:[0,1]
	v_mov_b32_e32 v129, v131
	v_pk_fma_f32 v[126:127], v[116:117], v[40:41], v[124:125] op_sel:[0,0,1] op_sel_hi:[1,1,0] neg_lo:[0,0,1] neg_hi:[0,0,1]
	v_pk_fma_f32 v[116:117], v[116:117], v[40:41], v[124:125] op_sel:[0,0,1] op_sel_hi:[1,0,0]
	s_waitcnt lgkmcnt(0)
	v_pk_add_f32 v[140:141], v[120:121], v[122:123] neg_lo:[0,1] neg_hi:[0,1]
	v_mov_b32_e32 v127, v117
	v_pk_add_f32 v[106:107], v[118:119], v[126:127] neg_lo:[0,1] neg_hi:[0,1]
	v_pk_fma_f32 v[144:145], v[120:121], 2.0, v[140:141] op_sel_hi:[1,0,1] neg_lo:[0,0,1] neg_hi:[0,0,1]
	v_pk_fma_f32 v[142:143], v[118:119], 2.0, v[106:107] op_sel_hi:[1,0,1] neg_lo:[0,0,1] neg_hi:[0,0,1]
	ds_read2_b64 v[116:119], v58 offset0:98 offset1:147
	ds_read2_b64 v[120:123], v58 offset0:196 offset1:245
	ds_read2_b64 v[124:127], v108 offset0:76 offset1:125
	v_mov_b32_e32 v133, v135
	ds_write2_b64 v58, v[142:143], v[144:145] offset1:49
	s_waitcnt lgkmcnt(3)
	v_pk_add_f32 v[128:129], v[116:117], v[128:129] neg_lo:[0,1] neg_hi:[0,1]
	ds_write2_b64 v110, v[140:141], v[128:129] offset0:136 offset1:185
	v_pk_fma_f32 v[116:117], v[116:117], 2.0, v[128:129] op_sel_hi:[1,0,1] neg_lo:[0,0,1] neg_hi:[0,0,1]
	v_pk_add_f32 v[128:129], v[118:119], v[132:133] neg_lo:[0,1] neg_hi:[0,1]
	v_mov_b32_e32 v137, v139
	v_pk_fma_f32 v[118:119], v[118:119], 2.0, v[128:129] op_sel_hi:[1,0,1] neg_lo:[0,0,1] neg_hi:[0,0,1]
	ds_write2_b64 v58, v[116:117], v[118:119] offset0:98 offset1:147
	s_waitcnt vmcnt(1) lgkmcnt(3)
	v_pk_mul_f32 v[116:117], v[124:125], v[48:49] op_sel:[0,1]
	ds_write_b64 v58, v[106:107] offset:2744
	v_pk_fma_f32 v[118:119], v[124:125], v[48:49], v[116:117] op_sel:[0,0,1] op_sel_hi:[1,1,0] neg_lo:[0,0,1] neg_hi:[0,0,1]
	v_pk_fma_f32 v[116:117], v[124:125], v[48:49], v[116:117] op_sel:[0,0,1] op_sel_hi:[1,0,0]
	s_waitcnt vmcnt(0)
	v_pk_mul_f32 v[124:125], v[126:127], v[46:47] op_sel:[0,1]
	v_mov_b32_e32 v119, v117
	v_pk_fma_f32 v[130:131], v[126:127], v[46:47], v[124:125] op_sel:[0,0,1] op_sel_hi:[1,1,0] neg_lo:[0,0,1] neg_hi:[0,0,1]
	v_pk_fma_f32 v[124:125], v[126:127], v[46:47], v[124:125] op_sel:[0,0,1] op_sel_hi:[1,0,0]
	v_pk_add_f32 v[106:107], v[120:121], v[136:137] neg_lo:[0,1] neg_hi:[0,1]
	v_pk_add_f32 v[116:117], v[122:123], v[118:119] neg_lo:[0,1] neg_hi:[0,1]
	ds_write2_b64 v109, v[128:129], v[106:107] offset0:106 offset1:155
	v_pk_fma_f32 v[106:107], v[120:121], 2.0, v[106:107] op_sel_hi:[1,0,1] neg_lo:[0,0,1] neg_hi:[0,0,1]
	v_pk_fma_f32 v[118:119], v[122:123], 2.0, v[116:117] op_sel_hi:[1,0,1] neg_lo:[0,0,1] neg_hi:[0,0,1]
	v_mov_b32_e32 v131, v125
	ds_write2_b64 v58, v[106:107], v[118:119] offset0:196 offset1:245
	v_pk_add_f32 v[106:107], v[114:115], v[130:131] neg_lo:[0,1] neg_hi:[0,1]
	s_nop 0
	v_pk_fma_f32 v[114:115], v[114:115], 2.0, v[106:107] op_sel_hi:[1,0,1] neg_lo:[0,0,1] neg_hi:[0,0,1]
	ds_write2_b64 v108, v[116:117], v[106:107] offset0:76 offset1:125
	ds_write_b64 v58, v[114:115] offset:2352
	s_waitcnt lgkmcnt(0)
	; wave barrier
	s_waitcnt lgkmcnt(0)
	global_load_dwordx2 v[106:107], v[96:97], off offset:1392
	v_lshl_add_u64 v[96:97], v[94:95], 0, s[10:11]
	global_load_dwordx2 v[118:119], v[96:97], off offset:392
	global_load_dwordx2 v[120:121], v[96:97], off offset:784
	;; [unrolled: 1-line block ×10, first 2 shown]
	v_add_co_u32_e32 v94, vcc, s7, v94
	s_mov_b32 s10, 0xbee1c552
	s_nop 0
	v_addc_co_u32_e32 v95, vcc, 0, v95, vcc
	global_load_dwordx2 v[138:139], v[94:95], off offset:1608
	global_load_dwordx2 v[140:141], v[94:95], off offset:2000
	;; [unrolled: 1-line block ×3, first 2 shown]
	ds_read2_b64 v[94:97], v58 offset1:49
	s_waitcnt vmcnt(13) lgkmcnt(0)
	v_mul_f32_e32 v113, v95, v107
	v_mul_f32_e32 v115, v94, v107
	v_fma_f32 v114, v94, v106, -v113
	v_fmac_f32_e32 v115, v95, v106
	ds_write_b64 v58, v[114:115]
	ds_read2_b64 v[114:117], v58 offset0:98 offset1:147
	s_waitcnt vmcnt(12)
	v_mul_f32_e32 v94, v97, v119
	v_fma_f32 v106, v96, v118, -v94
	v_mul_f32_e32 v107, v96, v119
	v_fmac_f32_e32 v107, v97, v118
	s_waitcnt vmcnt(11) lgkmcnt(0)
	v_mul_f32_e32 v94, v115, v121
	v_fma_f32 v118, v114, v120, -v94
	ds_read2_b64 v[94:97], v58 offset0:196 offset1:245
	v_mul_f32_e32 v119, v114, v121
	s_waitcnt vmcnt(10)
	v_mul_f32_e32 v113, v117, v123
	v_mul_f32_e32 v121, v116, v123
	v_fmac_f32_e32 v119, v115, v120
	v_fma_f32 v120, v116, v122, -v113
	v_fmac_f32_e32 v121, v117, v122
	ds_read2_b64 v[114:117], v110 offset0:38 offset1:87
	s_waitcnt vmcnt(9) lgkmcnt(1)
	v_mul_f32_e32 v113, v95, v125
	v_fma_f32 v122, v94, v124, -v113
	v_mul_f32_e32 v123, v94, v125
	s_waitcnt vmcnt(8)
	v_mul_f32_e32 v94, v97, v127
	v_fmac_f32_e32 v123, v95, v124
	v_fma_f32 v124, v96, v126, -v94
	v_mul_f32_e32 v125, v96, v127
	s_waitcnt vmcnt(7) lgkmcnt(0)
	v_mul_f32_e32 v94, v115, v129
	v_fmac_f32_e32 v125, v97, v126
	v_fma_f32 v126, v114, v128, -v94
	ds_read2_b64 v[94:97], v110 offset0:136 offset1:185
	v_mul_f32_e32 v127, v114, v129
	s_waitcnt vmcnt(6)
	v_mul_f32_e32 v113, v117, v131
	v_mul_f32_e32 v129, v116, v131
	v_fmac_f32_e32 v127, v115, v128
	v_fma_f32 v128, v116, v130, -v113
	v_fmac_f32_e32 v129, v117, v130
	ds_read2_b64 v[114:117], v109 offset0:106 offset1:155
	s_waitcnt vmcnt(5) lgkmcnt(1)
	v_mul_f32_e32 v113, v95, v133
	v_fma_f32 v130, v94, v132, -v113
	v_mul_f32_e32 v131, v94, v133
	s_waitcnt vmcnt(4)
	v_mul_f32_e32 v94, v97, v135
	v_fmac_f32_e32 v131, v95, v132
	v_fma_f32 v132, v96, v134, -v94
	v_mul_f32_e32 v133, v96, v135
	s_waitcnt vmcnt(3) lgkmcnt(0)
	v_mul_f32_e32 v94, v115, v137
	v_fmac_f32_e32 v133, v97, v134
	v_fma_f32 v134, v114, v136, -v94
	ds_read2_b64 v[94:97], v108 offset0:76 offset1:125
	v_mul_f32_e32 v135, v114, v137
	s_waitcnt vmcnt(2)
	v_mul_f32_e32 v113, v117, v139
	v_fmac_f32_e32 v135, v115, v136
	v_fma_f32 v114, v116, v138, -v113
	v_mul_f32_e32 v115, v116, v139
	s_waitcnt vmcnt(1) lgkmcnt(0)
	v_mul_f32_e32 v113, v95, v141
	v_fmac_f32_e32 v115, v117, v138
	v_fma_f32 v116, v94, v140, -v113
	v_mul_f32_e32 v117, v94, v141
	s_waitcnt vmcnt(0)
	v_mul_f32_e32 v94, v97, v143
	v_fmac_f32_e32 v117, v95, v140
	v_fma_f32 v94, v96, v142, -v94
	v_mul_f32_e32 v95, v96, v143
	v_add_u32_e32 v96, 0x400, v58
	v_fmac_f32_e32 v95, v97, v142
	ds_write2_b64 v96, v[124:125], v[126:127] offset0:117 offset1:166
	ds_write2_b64 v58, v[106:107], v[118:119] offset0:49 offset1:98
	;; [unrolled: 1-line block ×6, first 2 shown]
	ds_write_b64 v58, v[94:95] offset:5096
	s_waitcnt lgkmcnt(0)
	; wave barrier
	s_waitcnt lgkmcnt(0)
	ds_read2_b64 v[114:117], v58 offset0:98 offset1:147
	ds_read2_b64 v[118:121], v108 offset0:76 offset1:125
	;; [unrolled: 1-line block ×4, first 2 shown]
	s_waitcnt lgkmcnt(2)
	v_pk_add_f32 v[94:95], v[116:117], v[120:121]
	v_pk_add_f32 v[96:97], v[114:115], v[118:119]
	v_pk_add_f32 v[106:107], v[114:115], v[118:119] neg_lo:[0,1] neg_hi:[0,1]
	v_pk_add_f32 v[130:131], v[116:117], v[120:121] neg_lo:[0,1] neg_hi:[0,1]
	ds_read2_b64 v[114:117], v110 offset0:38 offset1:87
	ds_read2_b64 v[118:121], v110 offset0:136 offset1:185
	s_waitcnt lgkmcnt(2)
	v_pk_add_f32 v[132:133], v[124:125], v[128:129]
	v_pk_add_f32 v[134:135], v[122:123], v[126:127]
	v_pk_add_f32 v[124:125], v[124:125], v[128:129] neg_lo:[0,1] neg_hi:[0,1]
	v_pk_add_f32 v[122:123], v[122:123], v[126:127] neg_lo:[0,1] neg_hi:[0,1]
	s_waitcnt lgkmcnt(0)
	v_pk_add_f32 v[128:129], v[114:115], v[118:119]
	v_pk_add_f32 v[126:127], v[116:117], v[120:121]
	v_pk_add_f32 v[114:115], v[118:119], v[114:115] neg_lo:[0,1] neg_hi:[0,1]
	v_pk_add_f32 v[118:119], v[120:121], v[116:117] neg_lo:[0,1] neg_hi:[0,1]
	v_mov_b32_e32 v116, v128
	v_mov_b32_e32 v117, v97
	;; [unrolled: 1-line block ×4, first 2 shown]
	v_pk_add_f32 v[120:121], v[116:117], v[120:121] neg_lo:[0,1] neg_hi:[0,1]
	v_pk_add_f32 v[116:117], v[134:135], v[96:97]
	v_mov_b32_e32 v138, v123
	v_pk_add_f32 v[136:137], v[128:129], v[116:117]
	v_mov_b32_e32 v116, v96
	v_mov_b32_e32 v117, v129
	;; [unrolled: 1-line block ×3, first 2 shown]
	v_pk_add_f32 v[128:129], v[116:117], v[128:129] neg_lo:[0,1] neg_hi:[0,1]
	v_mov_b32_e32 v116, v115
	v_mov_b32_e32 v117, v106
	;; [unrolled: 1-line block ×3, first 2 shown]
	v_pk_add_f32 v[116:117], v[116:117], v[138:139] neg_lo:[0,1] neg_hi:[0,1]
	v_mov_b32_e32 v138, v107
	v_mov_b32_e32 v140, v115
	;; [unrolled: 1-line block ×3, first 2 shown]
	v_pk_add_f32 v[114:115], v[114:115], v[122:123]
	v_pk_add_f32 v[138:139], v[138:139], v[140:141] neg_lo:[0,1] neg_hi:[0,1]
	v_pk_add_f32 v[140:141], v[114:115], v[106:107]
	v_pk_mul_f32 v[142:143], v[116:117], s[18:19]
	ds_read2_b64 v[114:117], v58 offset1:49
	v_pk_mul_f32 v[144:145], v[140:141], s[10:11] op_sel_hi:[1,0]
	v_pk_fma_f32 v[146:147], v[138:139], s[14:15], v[142:143]
	v_pk_mul_f32 v[120:121], v[120:121], s[12:13]
	v_pk_add_f32 v[144:145], v[144:145], v[146:147] op_sel:[1,0] op_sel_hi:[0,1]
	s_waitcnt lgkmcnt(0)
	v_pk_add_f32 v[114:115], v[114:115], v[136:137]
	v_pk_fma_f32 v[146:147], v[128:129], s[2:3], v[120:121]
	v_pk_fma_f32 v[136:137], v[136:137], s[8:9], v[114:115] op_sel_hi:[1,0,1] neg_lo:[1,0,0] neg_hi:[1,0,0]
	s_nop 0
	v_pk_add_f32 v[146:147], v[146:147], v[136:137]
	; wave barrier
	s_nop 0
	v_pk_add_f32 v[148:149], v[146:147], v[144:145]
	v_pk_add_f32 v[144:145], v[146:147], v[144:145] neg_lo:[0,1] neg_hi:[0,1]
	v_mov_b32_e32 v146, v148
	v_mov_b32_e32 v147, v145
	ds_write2_b64 v111, v[114:115], v[146:147] offset1:1
	v_pk_add_f32 v[106:107], v[122:123], v[106:107] neg_lo:[0,1] neg_hi:[0,1]
	v_pk_mul_f32 v[114:115], v[128:129], s[2:3]
	v_pk_mul_f32 v[122:123], v[138:139], s[14:15]
	v_pk_add_f32 v[96:97], v[134:135], v[96:97] neg_lo:[0,1] neg_hi:[0,1]
	v_mov_b32_e32 v128, v114
	v_mov_b32_e32 v129, v121
	;; [unrolled: 1-line block ×7, first 2 shown]
	v_pk_fma_f32 v[128:129], v[96:97], s[6:7], v[128:129] op_sel_hi:[1,0,1] neg_lo:[1,0,1] neg_hi:[1,0,1]
	v_pk_fma_f32 v[134:135], v[106:107], s[16:17], v[134:135] op_sel_hi:[1,0,1] neg_lo:[1,0,1] neg_hi:[1,0,1]
	;; [unrolled: 1-line block ×4, first 2 shown]
	v_pk_add_f32 v[128:129], v[128:129], v[136:137]
	v_pk_fma_f32 v[134:135], v[140:141], s[10:11], v[134:135] op_sel_hi:[1,0,1]
	v_pk_add_f32 v[96:97], v[96:97], v[136:137]
	v_pk_fma_f32 v[106:107], v[140:141], s[10:11], v[106:107] op_sel_hi:[1,0,1]
	v_pk_add_f32 v[138:139], v[128:129], v[134:135] op_sel:[0,1] op_sel_hi:[1,0]
	v_pk_add_f32 v[128:129], v[128:129], v[134:135] op_sel:[0,1] op_sel_hi:[1,0] neg_lo:[0,1] neg_hi:[0,1]
	v_pk_add_f32 v[114:115], v[96:97], v[106:107] op_sel:[0,1] op_sel_hi:[1,0] neg_lo:[0,1] neg_hi:[0,1]
	v_pk_add_f32 v[96:97], v[96:97], v[106:107] op_sel:[0,1] op_sel_hi:[1,0]
	v_mov_b32_e32 v107, v129
	v_mov_b32_e32 v121, v97
	;; [unrolled: 1-line block ×4, first 2 shown]
	ds_write2_b64 v111, v[96:97], v[128:129] offset0:4 offset1:5
	v_pk_add_f32 v[96:97], v[132:133], v[94:95]
	v_mov_b32_e32 v106, v138
	v_mov_b32_e32 v120, v114
	v_pk_add_f32 v[96:97], v[126:127], v[96:97]
	ds_write2_b64 v111, v[106:107], v[120:121] offset0:2 offset1:3
	v_pk_add_f32 v[106:107], v[116:117], v[96:97]
	v_mov_b32_e32 v114, v126
	v_mov_b32_e32 v115, v95
	;; [unrolled: 1-line block ×4, first 2 shown]
	v_pk_add_f32 v[114:115], v[114:115], v[116:117] neg_lo:[0,1] neg_hi:[0,1]
	v_mov_b32_e32 v116, v94
	v_mov_b32_e32 v127, v133
	v_mov_b32_e32 v120, v119
	v_mov_b32_e32 v121, v130
	v_mov_b32_e32 v122, v125
	v_mov_b32_e32 v123, v118
	v_pk_add_f32 v[116:117], v[116:117], v[126:127] neg_lo:[0,1] neg_hi:[0,1]
	v_pk_add_f32 v[120:121], v[120:121], v[122:123] neg_lo:[0,1] neg_hi:[0,1]
	v_mov_b32_e32 v122, v131
	v_mov_b32_e32 v126, v119
	;; [unrolled: 1-line block ×3, first 2 shown]
	v_pk_add_f32 v[118:119], v[118:119], v[124:125]
	v_pk_add_f32 v[122:123], v[122:123], v[126:127] neg_lo:[0,1] neg_hi:[0,1]
	v_pk_add_f32 v[118:119], v[118:119], v[130:131]
	v_pk_mul_f32 v[120:121], v[120:121], s[18:19]
	v_pk_mul_f32 v[126:127], v[118:119], s[10:11] op_sel_hi:[1,0]
	v_pk_fma_f32 v[128:129], v[122:123], s[14:15], v[120:121]
	v_pk_mul_f32 v[114:115], v[114:115], s[12:13]
	v_pk_add_f32 v[126:127], v[126:127], v[128:129] op_sel:[1,0] op_sel_hi:[0,1]
	v_pk_fma_f32 v[96:97], v[96:97], s[8:9], v[106:107] op_sel_hi:[1,0,1] neg_lo:[1,0,0] neg_hi:[1,0,0]
	v_pk_fma_f32 v[128:129], v[116:117], s[2:3], v[114:115]
	v_mov_b32_e32 v145, v149
	v_pk_add_f32 v[128:129], v[128:129], v[96:97]
	v_pk_mul_f32 v[116:117], v[116:117], s[2:3]
	v_pk_add_f32 v[134:135], v[128:129], v[126:127]
	v_pk_add_f32 v[126:127], v[128:129], v[126:127] neg_lo:[0,1] neg_hi:[0,1]
	v_mov_b32_e32 v128, v134
	v_mov_b32_e32 v129, v127
	ds_write_b64 v111, v[144:145] offset:48
	ds_write2_b64 v65, v[106:107], v[128:129] offset1:1
	v_pk_add_f32 v[94:95], v[132:133], v[94:95] neg_lo:[0,1] neg_hi:[0,1]
	v_pk_add_f32 v[106:107], v[124:125], v[130:131] neg_lo:[0,1] neg_hi:[0,1]
	v_pk_mul_f32 v[122:123], v[122:123], s[14:15]
	v_mov_b32_e32 v124, v116
	v_mov_b32_e32 v125, v115
	;; [unrolled: 1-line block ×3, first 2 shown]
	v_pk_fma_f32 v[124:125], v[94:95], s[6:7], v[124:125] op_sel_hi:[1,0,1] neg_lo:[1,0,1] neg_hi:[1,0,1]
	v_mov_b32_e32 v128, v121
	v_mov_b32_e32 v129, v122
	v_pk_fma_f32 v[94:95], v[94:95], s[6:7], v[114:115] op_sel_hi:[1,0,1] neg_lo:[0,0,1] neg_hi:[0,0,1]
	v_mov_b32_e32 v114, v123
	v_mov_b32_e32 v115, v120
	v_pk_fma_f32 v[128:129], v[106:107], s[16:17], v[128:129] op_sel_hi:[1,0,1] neg_lo:[1,0,1] neg_hi:[1,0,1]
	v_pk_fma_f32 v[106:107], v[106:107], s[16:17], v[114:115] op_sel_hi:[1,0,1] neg_lo:[0,0,1] neg_hi:[0,0,1]
	v_pk_add_f32 v[124:125], v[124:125], v[96:97]
	v_pk_fma_f32 v[128:129], v[118:119], s[10:11], v[128:129] op_sel_hi:[1,0,1]
	v_pk_add_f32 v[94:95], v[94:95], v[96:97]
	v_pk_fma_f32 v[96:97], v[118:119], s[10:11], v[106:107] op_sel_hi:[1,0,1]
	v_pk_add_f32 v[130:131], v[124:125], v[128:129] op_sel:[0,1] op_sel_hi:[1,0]
	v_pk_add_f32 v[124:125], v[124:125], v[128:129] op_sel:[0,1] op_sel_hi:[1,0] neg_lo:[0,1] neg_hi:[0,1]
	v_pk_add_f32 v[106:107], v[94:95], v[96:97] op_sel:[0,1] op_sel_hi:[1,0] neg_lo:[0,1] neg_hi:[0,1]
	v_pk_add_f32 v[94:95], v[94:95], v[96:97] op_sel:[0,1] op_sel_hi:[1,0]
	v_mov_b32_e32 v96, v130
	v_mov_b32_e32 v97, v125
	;; [unrolled: 1-line block ×7, first 2 shown]
	ds_write2_b64 v65, v[96:97], v[114:115] offset0:2 offset1:3
	ds_write2_b64 v65, v[94:95], v[124:125] offset0:4 offset1:5
	ds_write_b64 v65, v[126:127] offset:48
	s_waitcnt lgkmcnt(0)
	; wave barrier
	s_waitcnt lgkmcnt(0)
	ds_read2_b64 v[94:97], v58 offset0:98 offset1:147
	ds_read2_b64 v[114:117], v58 offset0:196 offset1:245
	v_mov_b32_e32 v65, v76
	s_waitcnt lgkmcnt(1)
	v_mov_b32_e32 v106, v95
	v_pk_mul_f32 v[118:119], v[20:21], v[94:95] op_sel_hi:[1,0]
	s_nop 0
	v_pk_fma_f32 v[106:107], v[20:21], v[106:107], v[118:119] op_sel:[0,0,1] op_sel_hi:[1,1,0] neg_lo:[0,0,1] neg_hi:[0,0,1]
	v_pk_fma_f32 v[118:119], v[20:21], v[94:95], v[118:119] op_sel:[0,1,1] op_sel_hi:[1,1,0]
	s_waitcnt lgkmcnt(0)
	v_mov_b32_e32 v20, v115
	v_pk_mul_f32 v[94:95], v[22:23], v[114:115] op_sel_hi:[1,0]
	v_mov_b32_e32 v107, v119
	v_pk_fma_f32 v[120:121], v[22:23], v[20:21], v[94:95] op_sel:[0,0,1] op_sel_hi:[1,1,0] neg_lo:[0,0,1] neg_hi:[0,0,1]
	v_pk_fma_f32 v[122:123], v[22:23], v[114:115], v[94:95] op_sel:[0,1,1] op_sel_hi:[1,1,0]
	v_pk_mul_f32 v[94:95], v[12:13], v[96:97] op_sel_hi:[1,0]
	v_mov_b32_e32 v22, v97
	v_pk_fma_f32 v[20:21], v[12:13], v[96:97], v[94:95] op_sel:[0,1,1] op_sel_hi:[1,1,0]
	v_pk_fma_f32 v[12:13], v[12:13], v[22:23], v[94:95] op_sel:[0,0,1] op_sel_hi:[1,1,0] neg_lo:[0,0,1] neg_hi:[0,0,1]
	v_mov_b32_e32 v20, v117
	ds_read2_b64 v[94:97], v109 offset0:106 offset1:155
	v_pk_mul_f32 v[114:115], v[14:15], v[116:117] op_sel_hi:[1,0]
	v_mov_b32_e32 v121, v123
	v_pk_fma_f32 v[22:23], v[14:15], v[116:117], v[114:115] op_sel:[0,1,1] op_sel_hi:[1,1,0]
	v_pk_fma_f32 v[14:15], v[14:15], v[20:21], v[114:115] op_sel:[0,0,1] op_sel_hi:[1,1,0] neg_lo:[0,0,1] neg_hi:[0,0,1]
	ds_read2_b64 v[114:117], v108 offset0:76 offset1:125
	s_waitcnt lgkmcnt(1)
	v_mov_b32_e32 v20, v95
	v_pk_mul_f32 v[124:125], v[4:5], v[94:95] op_sel_hi:[1,0]
	v_mov_b32_e32 v13, v21
	v_pk_fma_f32 v[126:127], v[4:5], v[20:21], v[124:125] op_sel:[0,0,1] op_sel_hi:[1,1,0] neg_lo:[0,0,1] neg_hi:[0,0,1]
	v_pk_fma_f32 v[124:125], v[4:5], v[94:95], v[124:125] op_sel:[0,1,1] op_sel_hi:[1,1,0]
	s_waitcnt lgkmcnt(0)
	v_mov_b32_e32 v4, v115
	v_pk_mul_f32 v[94:95], v[6:7], v[114:115] op_sel_hi:[1,0]
	v_pk_mul_f32 v[134:135], v[2:3], v[116:117] op_sel_hi:[1,0]
	v_pk_fma_f32 v[128:129], v[6:7], v[4:5], v[94:95] op_sel:[0,0,1] op_sel_hi:[1,1,0] neg_lo:[0,0,1] neg_hi:[0,0,1]
	v_pk_fma_f32 v[114:115], v[6:7], v[114:115], v[94:95] op_sel:[0,1,1] op_sel_hi:[1,1,0]
	v_mov_b32_e32 v4, v97
	v_pk_mul_f32 v[6:7], v[0:1], v[96:97] op_sel_hi:[1,0]
	v_mov_b32_e32 v127, v125
	v_pk_fma_f32 v[130:131], v[0:1], v[96:97], v[6:7] op_sel:[0,1,1] op_sel_hi:[1,1,0]
	v_pk_fma_f32 v[132:133], v[0:1], v[4:5], v[6:7] op_sel:[0,0,1] op_sel_hi:[1,1,0] neg_lo:[0,0,1] neg_hi:[0,0,1]
	ds_read2_b64 v[4:7], v110 offset0:38 offset1:87
	ds_read2_b64 v[94:97], v110 offset0:136 offset1:185
	v_mov_b32_e32 v0, v117
	v_pk_fma_f32 v[116:117], v[2:3], v[116:117], v[134:135] op_sel:[0,1,1] op_sel_hi:[1,1,0]
	v_pk_fma_f32 v[134:135], v[2:3], v[0:1], v[134:135] op_sel:[0,0,1] op_sel_hi:[1,1,0] neg_lo:[0,0,1] neg_hi:[0,0,1]
	s_waitcnt lgkmcnt(1)
	v_pk_mul_f32 v[0:1], v[8:9], v[4:5] op_sel:[0,1] op_sel_hi:[1,0]
	s_waitcnt lgkmcnt(0)
	v_pk_mul_f32 v[2:3], v[10:11], v[94:95] op_sel:[0,1] op_sel_hi:[1,0]
	v_mov_b32_e32 v0, v1
	v_mov_b32_e32 v2, v3
	v_pk_fma_f32 v[0:1], v[8:9], v[4:5], v[0:1] op_sel:[0,1,0] op_sel_hi:[1,0,1] neg_lo:[0,0,1] neg_hi:[0,0,1]
	v_pk_fma_f32 v[2:3], v[10:11], v[94:95], v[2:3] op_sel:[0,1,0] op_sel_hi:[1,0,1] neg_lo:[0,0,1] neg_hi:[0,0,1]
	v_pk_mul_f32 v[136:137], v[8:9], v[4:5]
	v_mov_b32_e32 v8, v9
	v_pk_mul_f32 v[138:139], v[10:11], v[94:95]
	v_mov_b32_e32 v10, v11
	v_pk_mul_f32 v[140:141], v[28:29], v[6:7] op_sel:[0,1] op_sel_hi:[1,0]
	v_pk_mul_f32 v[4:5], v[8:9], v[4:5] op_sel:[0,1] op_sel_hi:[1,0]
	v_mov_b32_e32 v8, v29
	v_mov_b32_e32 v20, v141
	v_pk_mul_f32 v[10:11], v[10:11], v[94:95] op_sel:[0,1] op_sel_hi:[1,0]
	v_pk_mul_f32 v[8:9], v[8:9], v[6:7] op_sel:[0,1] op_sel_hi:[1,0]
	v_pk_fma_f32 v[140:141], v[28:29], v[6:7], v[20:21] op_sel:[0,1,0] op_sel_hi:[1,0,1] neg_lo:[0,0,1] neg_hi:[0,0,1]
	v_pk_mul_f32 v[6:7], v[28:29], v[6:7]
	v_pk_mul_f32 v[28:29], v[30:31], v[96:97] op_sel:[0,1] op_sel_hi:[1,0]
	v_mov_b32_e32 v139, v106
	v_mov_b32_e32 v11, v128
	;; [unrolled: 1-line block ×5, first 2 shown]
	v_pk_add_f32 v[10:11], v[138:139], v[10:11]
	v_pk_add_f32 v[4:5], v[136:137], v[4:5]
	v_pk_fma_f32 v[28:29], v[30:31], v[96:97], v[20:21] op_sel:[0,1,0] op_sel_hi:[1,0,1] neg_lo:[0,0,1] neg_hi:[0,0,1]
	v_mov_b32_e32 v20, v31
	v_mov_b32_e32 v129, v115
	;; [unrolled: 1-line block ×4, first 2 shown]
	v_pk_mul_f32 v[142:143], v[30:31], v[96:97]
	v_pk_mul_f32 v[30:31], v[20:21], v[96:97] op_sel:[0,1] op_sel_hi:[1,0]
	v_pk_add_f32 v[96:97], v[106:107], v[128:129] neg_lo:[0,1] neg_hi:[0,1]
	v_pk_add_f32 v[114:115], v[120:121], v[126:127] neg_lo:[0,1] neg_hi:[0,1]
	;; [unrolled: 1-line block ×3, first 2 shown]
	v_pk_add_f32 v[94:95], v[106:107], v[128:129]
	v_pk_add_f32 v[106:107], v[120:121], v[126:127]
	v_mov_b32_e32 v120, v118
	v_mov_b32_e32 v121, v97
	;; [unrolled: 1-line block ×4, first 2 shown]
	v_pk_add_f32 v[120:121], v[120:121], v[122:123] neg_lo:[0,1] neg_hi:[0,1]
	v_mov_b32_e32 v122, v96
	v_mov_b32_e32 v124, v118
	;; [unrolled: 1-line block ×7, first 2 shown]
	v_pk_add_f32 v[122:123], v[122:123], v[124:125] neg_lo:[0,1] neg_hi:[0,1]
	v_pk_add_f32 v[124:125], v[0:1], v[2:3]
	v_pk_add_f32 v[0:1], v[118:119], v[114:115]
	v_mov_b32_e32 v2, v107
	v_pk_add_f32 v[118:119], v[0:1], v[96:97]
	v_pk_add_f32 v[0:1], v[4:5], v[10:11]
	v_mov_b32_e32 v3, v125
	v_mov_b32_e32 v10, v0
	v_pk_add_f32 v[126:127], v[10:11], v[2:3] neg_lo:[0,1] neg_hi:[0,1]
	v_mov_b32_e32 v4, v0
	v_pk_add_f32 v[128:129], v[124:125], v[0:1]
	ds_read2_b64 v[0:3], v58 offset1:49
	v_mov_b32_e32 v124, v95
	v_pk_mul_f32 v[120:121], v[120:121], s[18:19]
	v_pk_add_f32 v[124:125], v[124:125], v[4:5] neg_lo:[0,1] neg_hi:[0,1]
	v_pk_mul_f32 v[126:127], v[126:127], s[12:13]
	s_waitcnt lgkmcnt(0)
	v_pk_add_f32 v[0:1], v[0:1], v[128:129]
	v_pk_fma_f32 v[136:137], v[124:125], s[2:3], v[126:127]
	v_pk_fma_f32 v[128:129], v[128:129], s[8:9], v[0:1] op_sel_hi:[1,0,1] neg_lo:[1,0,0] neg_hi:[1,0,0]
	v_pk_fma_f32 v[138:139], v[122:123], s[14:15], v[120:121]
	v_pk_add_f32 v[136:137], v[136:137], v[128:129]
	v_pk_fma_f32 v[138:139], v[118:119], s[10:11], v[138:139] op_sel_hi:[1,0,1]
	v_mov_b32_e32 v4, v107
	v_pk_add_f32 v[144:145], v[136:137], v[138:139]
	v_pk_add_f32 v[136:137], v[136:137], v[138:139] neg_lo:[0,1] neg_hi:[0,1]
	v_mov_b32_e32 v10, v95
	v_mov_b32_e32 v138, v144
	v_mov_b32_e32 v139, v137
	v_pk_add_f32 v[4:5], v[4:5], v[10:11] neg_lo:[0,1] neg_hi:[0,1]
	v_pk_mul_f32 v[10:11], v[122:123], s[14:15]
	v_pk_mul_f32 v[94:95], v[124:125], s[2:3]
	s_waitcnt lgkmcnt(0)
	; wave barrier
	ds_write2_b64 v73, v[0:1], v[138:139] offset1:7
	v_pk_add_f32 v[0:1], v[114:115], v[96:97] neg_lo:[0,1] neg_hi:[0,1]
	v_mov_b32_e32 v96, v94
	v_mov_b32_e32 v97, v127
	;; [unrolled: 1-line block ×6, first 2 shown]
	v_pk_fma_f32 v[96:97], v[4:5], s[6:7], v[96:97] op_sel_hi:[1,0,1] neg_lo:[1,0,1] neg_hi:[1,0,1]
	v_pk_fma_f32 v[106:107], v[0:1], s[16:17], v[106:107] op_sel_hi:[1,0,1] neg_lo:[1,0,1] neg_hi:[1,0,1]
	;; [unrolled: 1-line block ×4, first 2 shown]
	v_pk_add_f32 v[4:5], v[4:5], v[128:129]
	v_pk_fma_f32 v[0:1], v[118:119], s[10:11], v[0:1] op_sel_hi:[1,0,1]
	v_pk_add_f32 v[96:97], v[96:97], v[128:129]
	v_pk_fma_f32 v[106:107], v[118:119], s[10:11], v[106:107] op_sel_hi:[1,0,1]
	v_pk_add_f32 v[10:11], v[4:5], v[0:1] neg_lo:[0,1] neg_hi:[0,1]
	v_pk_add_f32 v[0:1], v[4:5], v[0:1]
	v_mov_b32_e32 v143, v12
	v_mov_b32_e32 v31, v134
	;; [unrolled: 1-line block ×4, first 2 shown]
	v_pk_add_f32 v[114:115], v[96:97], v[106:107]
	v_pk_add_f32 v[96:97], v[96:97], v[106:107] neg_lo:[0,1] neg_hi:[0,1]
	v_mov_b32_e32 v94, v10
	v_mov_b32_e32 v95, v1
	;; [unrolled: 1-line block ×3, first 2 shown]
	v_pk_add_f32 v[10:11], v[142:143], v[30:31]
	v_pk_add_f32 v[6:7], v[6:7], v[8:9]
	v_mov_b32_e32 v4, v114
	v_mov_b32_e32 v5, v97
	;; [unrolled: 1-line block ×8, first 2 shown]
	ds_write2_b64 v73, v[4:5], v[94:95] offset0:14 offset1:21
	ds_write2_b64 v73, v[0:1], v[96:97] offset0:28 offset1:35
	v_pk_add_f32 v[0:1], v[12:13], v[134:135]
	v_pk_add_f32 v[4:5], v[12:13], v[134:135] neg_lo:[0,1] neg_hi:[0,1]
	v_pk_add_f32 v[12:13], v[14:15], v[132:133]
	v_pk_add_f32 v[14:15], v[14:15], v[132:133] neg_lo:[0,1] neg_hi:[0,1]
	v_pk_add_f32 v[8:9], v[28:29], v[140:141] neg_lo:[0,1] neg_hi:[0,1]
	v_mov_b32_e32 v21, v5
	v_mov_b32_e32 v20, v8
	;; [unrolled: 1-line block ×4, first 2 shown]
	v_pk_add_f32 v[20:21], v[20:21], v[22:23] neg_lo:[0,1] neg_hi:[0,1]
	v_mov_b32_e32 v22, v4
	v_mov_b32_e32 v30, v8
	;; [unrolled: 1-line block ×3, first 2 shown]
	v_pk_add_f32 v[22:23], v[22:23], v[30:31] neg_lo:[0,1] neg_hi:[0,1]
	v_mov_b32_e32 v31, v140
	v_mov_b32_e32 v30, v13
	;; [unrolled: 1-line block ×4, first 2 shown]
	v_pk_add_f32 v[28:29], v[30:31], v[28:29]
	v_pk_add_f32 v[30:31], v[6:7], v[10:11]
	v_mov_b32_e32 v94, v13
	v_mov_b32_e32 v10, v30
	;; [unrolled: 1-line block ×4, first 2 shown]
	v_pk_add_f32 v[30:31], v[28:29], v[30:31]
	v_pk_add_f32 v[94:95], v[10:11], v[94:95] neg_lo:[0,1] neg_hi:[0,1]
	v_mov_b32_e32 v28, v1
	v_pk_add_f32 v[2:3], v[2:3], v[30:31]
	v_pk_mul_f32 v[20:21], v[20:21], s[18:19]
	v_pk_add_f32 v[8:9], v[8:9], v[14:15]
	v_pk_add_f32 v[28:29], v[28:29], v[6:7] neg_lo:[0,1] neg_hi:[0,1]
	v_pk_mul_f32 v[94:95], v[94:95], s[12:13]
	v_pk_add_f32 v[8:9], v[8:9], v[4:5]
	v_pk_fma_f32 v[30:31], v[30:31], s[8:9], v[2:3] op_sel_hi:[1,0,1] neg_lo:[1,0,0] neg_hi:[1,0,0]
	v_pk_fma_f32 v[96:97], v[28:29], s[2:3], v[94:95]
	v_pk_fma_f32 v[106:107], v[22:23], s[14:15], v[20:21]
	v_pk_add_f32 v[96:97], v[96:97], v[30:31]
	v_pk_fma_f32 v[106:107], v[8:9], s[10:11], v[106:107] op_sel_hi:[1,0,1]
	v_mov_b32_e32 v137, v145
	v_pk_add_f32 v[114:115], v[96:97], v[106:107]
	v_pk_add_f32 v[96:97], v[96:97], v[106:107] neg_lo:[0,1] neg_hi:[0,1]
	v_mov_b32_e32 v106, v114
	v_mov_b32_e32 v107, v97
	;; [unrolled: 1-line block ×4, first 2 shown]
	ds_write_b64 v73, v[136:137] offset:336
	ds_write2_b64 v112, v[2:3], v[106:107] offset1:7
	v_pk_add_f32 v[2:3], v[14:15], v[4:5] neg_lo:[0,1] neg_hi:[0,1]
	v_pk_add_f32 v[0:1], v[6:7], v[10:11] neg_lo:[0,1] neg_hi:[0,1]
	v_pk_mul_f32 v[4:5], v[22:23], s[14:15]
	v_pk_mul_f32 v[6:7], v[28:29], s[2:3]
	v_mov_b32_e32 v11, v95
	v_mov_b32_e32 v10, v6
	;; [unrolled: 1-line block ×6, first 2 shown]
	v_pk_fma_f32 v[10:11], v[0:1], s[6:7], v[10:11] op_sel_hi:[1,0,1] neg_lo:[1,0,1] neg_hi:[1,0,1]
	v_pk_fma_f32 v[12:13], v[2:3], s[16:17], v[12:13] op_sel_hi:[1,0,1] neg_lo:[1,0,1] neg_hi:[1,0,1]
	;; [unrolled: 1-line block ×4, first 2 shown]
	v_pk_add_f32 v[10:11], v[10:11], v[30:31]
	v_pk_fma_f32 v[12:13], v[8:9], s[10:11], v[12:13] op_sel_hi:[1,0,1]
	v_pk_add_f32 v[0:1], v[0:1], v[30:31]
	v_pk_fma_f32 v[2:3], v[8:9], s[10:11], v[2:3] op_sel_hi:[1,0,1]
	v_pk_add_f32 v[14:15], v[10:11], v[12:13]
	v_pk_add_f32 v[10:11], v[10:11], v[12:13] neg_lo:[0,1] neg_hi:[0,1]
	v_pk_add_f32 v[4:5], v[0:1], v[2:3] neg_lo:[0,1] neg_hi:[0,1]
	v_pk_add_f32 v[0:1], v[0:1], v[2:3]
	v_mov_b32_e32 v2, v14
	v_mov_b32_e32 v3, v11
	;; [unrolled: 1-line block ×7, first 2 shown]
	ds_write2_b64 v112, v[2:3], v[6:7] offset0:14 offset1:21
	ds_write2_b64 v112, v[0:1], v[10:11] offset0:28 offset1:35
	ds_write_b64 v112, v[96:97] offset:336
	s_waitcnt lgkmcnt(0)
	; wave barrier
	s_waitcnt lgkmcnt(0)
	ds_read2_b64 v[0:3], v58 offset0:98 offset1:147
	ds_read2_b64 v[4:7], v58 offset0:196 offset1:245
	s_waitcnt lgkmcnt(1)
	v_mov_b32_e32 v8, v1
	v_pk_mul_f32 v[10:11], v[32:33], v[0:1] op_sel_hi:[1,0]
	v_mov_b32_e32 v12, v2
	v_pk_fma_f32 v[20:21], v[32:33], v[8:9], v[10:11] op_sel:[0,0,1] op_sel_hi:[1,1,0] neg_lo:[0,0,1] neg_hi:[0,0,1]
	v_pk_fma_f32 v[22:23], v[32:33], v[0:1], v[10:11] op_sel:[0,1,1] op_sel_hi:[1,1,0]
	s_waitcnt lgkmcnt(0)
	v_mov_b32_e32 v0, v5
	v_pk_mul_f32 v[8:9], v[34:35], v[4:5] op_sel_hi:[1,0]
	v_mov_b32_e32 v21, v23
	v_pk_fma_f32 v[28:29], v[34:35], v[0:1], v[8:9] op_sel:[0,0,1] op_sel_hi:[1,1,0] neg_lo:[0,0,1] neg_hi:[0,0,1]
	v_pk_fma_f32 v[30:31], v[34:35], v[4:5], v[8:9] op_sel:[0,1,1] op_sel_hi:[1,1,0]
	ds_read2_b64 v[8:11], v110 offset0:38 offset1:87
	v_mul_f32_e32 v0, v33, v2
	v_fma_f32 v22, v32, v3, -v0
	v_mov_b32_e32 v2, v3
	v_mul_f32_e32 v1, v35, v7
	s_waitcnt lgkmcnt(0)
	v_mov_b32_e32 v3, v10
	v_pk_mul_f32 v[14:15], v[104:105], v[2:3]
	ds_read2_b64 v[2:5], v109 offset0:106 offset1:155
	v_mov_b32_e32 v13, v11
	v_fmac_f32_e32 v1, v34, v6
	v_pk_fma_f32 v[32:33], v[102:103], v[12:13], v[14:15]
	v_pk_fma_f32 v[34:35], v[102:103], v[12:13], v[14:15] neg_lo:[0,0,1] neg_hi:[0,0,1]
	ds_read2_b64 v[12:15], v108 offset0:76 offset1:125
	s_waitcnt lgkmcnt(1)
	v_mov_b32_e32 v0, v3
	v_pk_mul_f32 v[94:95], v[16:17], v[2:3] op_sel_hi:[1,0]
	v_mov_b32_e32 v29, v31
	v_pk_fma_f32 v[96:97], v[16:17], v[0:1], v[94:95] op_sel:[0,0,1] op_sel_hi:[1,1,0] neg_lo:[0,0,1] neg_hi:[0,0,1]
	v_pk_fma_f32 v[2:3], v[16:17], v[2:3], v[94:95] op_sel:[0,1,1] op_sel_hi:[1,1,0]
	s_waitcnt lgkmcnt(0)
	v_mov_b32_e32 v0, v13
	v_pk_mul_f32 v[94:95], v[18:19], v[12:13] op_sel_hi:[1,0]
	v_mov_b32_e32 v97, v3
	v_pk_fma_f32 v[102:103], v[18:19], v[0:1], v[94:95] op_sel:[0,0,1] op_sel_hi:[1,1,0] neg_lo:[0,0,1] neg_hi:[0,0,1]
	v_pk_fma_f32 v[12:13], v[18:19], v[12:13], v[94:95] op_sel:[0,1,1] op_sel_hi:[1,1,0]
	v_mul_f32_e32 v95, v17, v5
	v_fmac_f32_e32 v95, v16, v4
	v_mul_f32_e32 v0, v19, v14
	v_mov_b32_e32 v17, v6
	v_mov_b32_e32 v16, v11
	v_fma_f32 v12, v18, v15, -v0
	v_pk_mul_f32 v[98:99], v[98:99], v[16:17]
	v_mov_b32_e32 v6, v10
	v_mov_b32_e32 v0, v25
	v_pk_mul_f32 v[16:17], v[24:25], v[8:9] op_sel:[0,1] op_sel_hi:[1,0]
	v_pk_fma_f32 v[6:7], v[100:101], v[6:7], v[98:99] neg_lo:[0,0,1] neg_hi:[0,0,1]
	v_pk_mul_f32 v[100:101], v[0:1], v[8:9] op_sel:[0,1] op_sel_hi:[1,0]
	v_mov_b32_e32 v0, v17
	ds_read2_b64 v[16:19], v110 offset0:136 offset1:185
	v_pk_fma_f32 v[104:105], v[24:25], v[8:9], v[0:1] op_sel:[0,1,0] op_sel_hi:[1,0,1] neg_lo:[0,0,1] neg_hi:[0,0,1]
	v_pk_fma_f32 v[10:11], v[24:25], v[10:11], v[98:99]
	v_pk_mul_f32 v[8:9], v[24:25], v[8:9]
	v_mov_b32_e32 v25, v4
	s_waitcnt lgkmcnt(0)
	v_mov_b32_e32 v24, v19
	v_pk_mul_f32 v[24:25], v[54:55], v[24:25]
	v_mov_b32_e32 v4, v18
	v_pk_fma_f32 v[54:55], v[56:57], v[4:5], v[24:25] neg_lo:[0,0,1] neg_hi:[0,0,1]
	v_pk_mul_f32 v[4:5], v[26:27], v[16:17] op_sel:[0,1] op_sel_hi:[1,0]
	v_pk_mul_f32 v[56:57], v[26:27], v[16:17]
	v_mov_b32_e32 v0, v5
	v_pk_fma_f32 v[4:5], v[26:27], v[16:17], v[0:1] op_sel:[0,1,0] op_sel_hi:[1,0,1] neg_lo:[0,0,1] neg_hi:[0,0,1]
	v_mov_b32_e32 v0, v27
	v_pk_mul_f32 v[16:17], v[0:1], v[16:17] op_sel:[0,1] op_sel_hi:[1,0]
	v_mov_b32_e32 v57, v20
	v_mov_b32_e32 v17, v102
	;; [unrolled: 1-line block ×4, first 2 shown]
	v_pk_fma_f32 v[24:25], v[26:27], v[18:19], v[24:25]
	v_mov_b32_e32 v26, v15
	v_mov_b32_e32 v27, v18
	v_pk_add_f32 v[16:17], v[56:57], v[16:17]
	v_pk_add_f32 v[8:9], v[8:9], v[100:101]
	v_mov_b32_e32 v15, v19
	v_pk_mul_f32 v[18:19], v[52:53], v[26:27]
	v_mov_b32_e32 v103, v13
	v_mov_b32_e32 v5, v16
	v_mov_b32_e32 v105, v8
	v_pk_fma_f32 v[26:27], v[50:51], v[14:15], v[18:19]
	v_pk_fma_f32 v[14:15], v[50:51], v[14:15], v[18:19] neg_lo:[0,0,1] neg_hi:[0,0,1]
	v_pk_add_f32 v[18:19], v[20:21], v[102:103]
	v_pk_add_f32 v[20:21], v[20:21], v[102:103] neg_lo:[0,1] neg_hi:[0,1]
	v_pk_add_f32 v[30:31], v[28:29], v[96:97]
	v_pk_add_f32 v[28:29], v[28:29], v[96:97] neg_lo:[0,1] neg_hi:[0,1]
	v_pk_add_f32 v[2:3], v[4:5], v[104:105] neg_lo:[0,1] neg_hi:[0,1]
	v_mov_b32_e32 v51, v21
	v_mov_b32_e32 v50, v2
	;; [unrolled: 1-line block ×4, first 2 shown]
	v_pk_add_f32 v[50:51], v[50:51], v[52:53] neg_lo:[0,1] neg_hi:[0,1]
	v_mov_b32_e32 v52, v20
	v_mov_b32_e32 v56, v2
	;; [unrolled: 1-line block ×3, first 2 shown]
	v_pk_add_f32 v[52:53], v[52:53], v[56:57] neg_lo:[0,1] neg_hi:[0,1]
	v_mov_b32_e32 v57, v104
	v_mov_b32_e32 v56, v31
	;; [unrolled: 1-line block ×4, first 2 shown]
	v_pk_add_f32 v[2:3], v[2:3], v[28:29]
	v_pk_add_f32 v[56:57], v[56:57], v[4:5]
	;; [unrolled: 1-line block ×4, first 2 shown]
	v_mov_b32_e32 v4, v31
	v_mov_b32_e32 v16, v2
	;; [unrolled: 1-line block ×3, first 2 shown]
	v_pk_add_f32 v[98:99], v[16:17], v[4:5] neg_lo:[0,1] neg_hi:[0,1]
	v_mov_b32_e32 v8, v2
	v_pk_add_f32 v[100:101], v[56:57], v[2:3]
	ds_read2_b64 v[2:5], v58 offset1:49
	v_mov_b32_e32 v56, v19
	v_pk_mul_f32 v[50:51], v[50:51], s[18:19]
	v_pk_add_f32 v[56:57], v[56:57], v[8:9] neg_lo:[0,1] neg_hi:[0,1]
	v_pk_mul_f32 v[98:99], v[98:99], s[12:13]
	s_waitcnt lgkmcnt(0)
	v_pk_add_f32 v[2:3], v[2:3], v[100:101]
	v_pk_fma_f32 v[102:103], v[56:57], s[2:3], v[98:99]
	v_pk_fma_f32 v[100:101], v[100:101], s[8:9], v[2:3] op_sel_hi:[1,0,1] neg_lo:[1,0,0] neg_hi:[1,0,0]
	v_pk_fma_f32 v[104:105], v[52:53], s[14:15], v[50:51]
	v_pk_add_f32 v[102:103], v[102:103], v[100:101]
	v_pk_fma_f32 v[104:105], v[96:97], s[10:11], v[104:105] op_sel_hi:[1,0,1]
	v_mov_b32_e32 v8, v31
	v_pk_add_f32 v[106:107], v[102:103], v[104:105]
	v_pk_add_f32 v[102:103], v[102:103], v[104:105] neg_lo:[0,1] neg_hi:[0,1]
	v_mov_b32_e32 v16, v19
	v_mov_b32_e32 v104, v106
	;; [unrolled: 1-line block ×3, first 2 shown]
	v_pk_add_f32 v[8:9], v[8:9], v[16:17] neg_lo:[0,1] neg_hi:[0,1]
	v_pk_mul_f32 v[16:17], v[52:53], s[14:15]
	v_pk_mul_f32 v[18:19], v[56:57], s[2:3]
	s_waitcnt lgkmcnt(0)
	; wave barrier
	ds_write2_b64 v58, v[2:3], v[104:105] offset1:49
	v_pk_add_f32 v[2:3], v[28:29], v[20:21] neg_lo:[0,1] neg_hi:[0,1]
	v_mov_b32_e32 v20, v18
	v_mov_b32_e32 v21, v99
	;; [unrolled: 1-line block ×6, first 2 shown]
	v_pk_fma_f32 v[20:21], v[8:9], s[6:7], v[20:21] op_sel_hi:[1,0,1] neg_lo:[1,0,1] neg_hi:[1,0,1]
	v_pk_fma_f32 v[28:29], v[2:3], s[16:17], v[28:29] op_sel_hi:[1,0,1] neg_lo:[1,0,1] neg_hi:[1,0,1]
	;; [unrolled: 1-line block ×4, first 2 shown]
	v_pk_add_f32 v[20:21], v[20:21], v[100:101]
	v_pk_fma_f32 v[28:29], v[96:97], s[10:11], v[28:29] op_sel_hi:[1,0,1]
	v_pk_add_f32 v[8:9], v[8:9], v[100:101]
	v_pk_fma_f32 v[2:3], v[96:97], s[10:11], v[2:3] op_sel_hi:[1,0,1]
	v_pk_add_f32 v[30:31], v[20:21], v[28:29]
	v_pk_add_f32 v[20:21], v[20:21], v[28:29] neg_lo:[0,1] neg_hi:[0,1]
	v_pk_add_f32 v[16:17], v[8:9], v[2:3] neg_lo:[0,1] neg_hi:[0,1]
	v_pk_add_f32 v[2:3], v[8:9], v[2:3]
	v_mov_b32_e32 v8, v30
	v_mov_b32_e32 v9, v21
	;; [unrolled: 1-line block ×12, first 2 shown]
	ds_write2_b64 v58, v[8:9], v[18:19] offset0:98 offset1:147
	ds_write2_b64 v58, v[2:3], v[20:21] offset0:196 offset1:245
	v_add_f32_e32 v3, v22, v12
	v_pk_add_f32 v[8:9], v[22:23], v[12:13] neg_lo:[0,1] neg_hi:[0,1]
	v_mov_b32_e32 v0, v7
	v_mov_b32_e32 v94, v55
	v_add_f32_e32 v6, v1, v95
	v_pk_add_f32 v[12:13], v[32:33], v[26:27]
	v_mov_b32_e32 v14, v15
	v_mov_b32_e32 v15, v24
	v_pk_add_f32 v[16:17], v[10:11], v[24:25]
	v_mov_b32_e32 v18, v35
	v_mov_b32_e32 v19, v10
	v_pk_add_f32 v[0:1], v[0:1], v[94:95] neg_lo:[0,1] neg_hi:[0,1]
	v_pk_add_f32 v[10:11], v[14:15], v[18:19] neg_lo:[0,1] neg_hi:[0,1]
	v_mov_b32_e32 v14, v16
	v_mov_b32_e32 v15, v3
	;; [unrolled: 1-line block ×4, first 2 shown]
	v_pk_add_f32 v[14:15], v[14:15], v[18:19] neg_lo:[0,1] neg_hi:[0,1]
	v_mov_b32_e32 v18, v10
	v_mov_b32_e32 v19, v9
	;; [unrolled: 1-line block ×4, first 2 shown]
	v_pk_add_f32 v[18:19], v[18:19], v[20:21] neg_lo:[0,1] neg_hi:[0,1]
	v_mov_b32_e32 v20, v8
	v_pk_add_f32 v[22:23], v[10:11], v[0:1]
	v_mov_b32_e32 v11, v1
	v_mov_b32_e32 v7, v17
	;; [unrolled: 1-line block ×3, first 2 shown]
	v_pk_add_f32 v[10:11], v[20:21], v[10:11] neg_lo:[0,1] neg_hi:[0,1]
	v_pk_add_f32 v[20:21], v[12:13], v[16:17] neg_lo:[0,1] neg_hi:[0,1]
	v_mov_b32_e32 v17, v13
	v_pk_add_f32 v[12:13], v[6:7], v[2:3]
	v_mov_b32_e32 v103, v107
	v_pk_add_f32 v[12:13], v[16:17], v[12:13]
	v_pk_mul_f32 v[14:15], v[14:15], s[12:13]
	v_pk_add_f32 v[4:5], v[4:5], v[12:13]
	ds_write2_b64 v110, v[102:103], v[4:5] offset0:38 offset1:87
	v_pk_fma_f32 v[4:5], v[12:13], s[8:9], v[4:5] op_sel_hi:[1,0,1] neg_lo:[1,0,0] neg_hi:[1,0,0]
	v_pk_add_f32 v[12:13], v[22:23], v[8:9]
	v_pk_mul_f32 v[16:17], v[18:19], s[18:19]
	v_pk_add_f32 v[2:3], v[6:7], v[2:3] neg_lo:[0,1] neg_hi:[0,1]
	v_pk_add_f32 v[0:1], v[0:1], v[8:9] neg_lo:[0,1] neg_hi:[0,1]
	v_pk_mul_f32 v[6:7], v[20:21], s[2:3]
	v_pk_mul_f32 v[8:9], v[10:11], s[14:15]
	v_pk_fma_f32 v[18:19], v[20:21], s[2:3], v[14:15]
	v_pk_fma_f32 v[22:23], v[10:11], s[14:15], v[16:17]
	v_mov_b32_e32 v10, v6
	v_mov_b32_e32 v11, v15
	;; [unrolled: 1-line block ×6, first 2 shown]
	v_pk_fma_f32 v[10:11], v[2:3], s[6:7], v[10:11] op_sel_hi:[1,0,1] neg_lo:[1,0,1] neg_hi:[1,0,1]
	v_pk_fma_f32 v[20:21], v[0:1], s[16:17], v[20:21] op_sel_hi:[1,0,1] neg_lo:[1,0,1] neg_hi:[1,0,1]
	;; [unrolled: 1-line block ×4, first 2 shown]
	v_pk_add_f32 v[18:19], v[18:19], v[4:5]
	v_pk_fma_f32 v[22:23], v[12:13], s[10:11], v[22:23] op_sel_hi:[1,0,1]
	v_pk_add_f32 v[10:11], v[10:11], v[4:5]
	v_pk_fma_f32 v[20:21], v[12:13], s[10:11], v[20:21] op_sel_hi:[1,0,1]
	;; [unrolled: 2-line block ×3, first 2 shown]
	v_pk_add_f32 v[24:25], v[18:19], v[22:23] neg_lo:[0,1] neg_hi:[0,1]
	v_pk_add_f32 v[18:19], v[18:19], v[22:23]
	v_pk_add_f32 v[22:23], v[10:11], v[20:21] neg_lo:[0,1] neg_hi:[0,1]
	v_pk_add_f32 v[10:11], v[10:11], v[20:21]
	v_pk_add_f32 v[4:5], v[2:3], v[0:1]
	v_pk_add_f32 v[0:1], v[2:3], v[0:1] neg_lo:[0,1] neg_hi:[0,1]
	v_mov_b32_e32 v20, v18
	v_mov_b32_e32 v21, v25
	;; [unrolled: 1-line block ×9, first 2 shown]
	ds_write2_b64 v110, v[20:21], v[26:27] offset0:136 offset1:185
	ds_write2_b64 v109, v[2:3], v[4:5] offset0:106 offset1:155
	;; [unrolled: 1-line block ×3, first 2 shown]
	s_waitcnt lgkmcnt(0)
	; wave barrier
	s_waitcnt lgkmcnt(0)
	ds_read2_b64 v[0:3], v110 offset0:136 offset1:185
	ds_read2_b64 v[4:7], v109 offset0:106 offset1:155
	s_waitcnt lgkmcnt(1)
	v_pk_mul_f32 v[8:9], v[38:39], v[0:1] op_sel:[1,0]
	s_nop 0
	v_pk_fma_f32 v[10:11], v[38:39], v[0:1], v[8:9] op_sel:[0,0,1] op_sel_hi:[1,1,0]
	v_pk_fma_f32 v[8:9], v[38:39], v[0:1], v[8:9] op_sel:[0,0,1] op_sel_hi:[0,1,0] neg_lo:[0,0,1] neg_hi:[0,0,1]
	v_pk_mul_f32 v[0:1], v[36:37], v[2:3] op_sel:[1,0]
	s_waitcnt lgkmcnt(0)
	v_pk_mul_f32 v[16:17], v[42:43], v[4:5] op_sel:[1,0]
	v_pk_fma_f32 v[12:13], v[36:37], v[2:3], v[0:1] op_sel:[0,0,1] op_sel_hi:[1,1,0]
	v_pk_fma_f32 v[14:15], v[36:37], v[2:3], v[0:1] op_sel:[0,0,1] op_sel_hi:[0,1,0] neg_lo:[0,0,1] neg_hi:[0,0,1]
	ds_read2_b64 v[0:3], v108 offset0:76 offset1:125
	v_pk_fma_f32 v[18:19], v[42:43], v[4:5], v[16:17] op_sel:[0,0,1] op_sel_hi:[1,1,0]
	v_pk_fma_f32 v[16:17], v[42:43], v[4:5], v[16:17] op_sel:[0,0,1] op_sel_hi:[0,1,0] neg_lo:[0,0,1] neg_hi:[0,0,1]
	v_pk_mul_f32 v[4:5], v[44:45], v[6:7] op_sel:[1,0]
	v_mov_b32_e32 v11, v9
	v_pk_fma_f32 v[20:21], v[44:45], v[6:7], v[4:5] op_sel:[0,0,1] op_sel_hi:[1,1,0]
	v_pk_fma_f32 v[22:23], v[44:45], v[6:7], v[4:5] op_sel:[0,0,1] op_sel_hi:[0,1,0] neg_lo:[0,0,1] neg_hi:[0,0,1]
	ds_read2_b64 v[4:7], v110 offset0:38 offset1:87
	s_waitcnt lgkmcnt(1)
	v_pk_mul_f32 v[24:25], v[48:49], v[0:1] op_sel:[1,0]
	v_mov_b32_e32 v13, v15
	v_pk_fma_f32 v[26:27], v[48:49], v[0:1], v[24:25] op_sel:[0,0,1] op_sel_hi:[1,1,0]
	v_pk_fma_f32 v[24:25], v[48:49], v[0:1], v[24:25] op_sel:[0,0,1] op_sel_hi:[0,1,0] neg_lo:[0,0,1] neg_hi:[0,0,1]
	v_pk_mul_f32 v[0:1], v[46:47], v[2:3] op_sel:[1,0]
	s_waitcnt lgkmcnt(0)
	v_pk_mul_f32 v[32:33], v[40:41], v[6:7] op_sel:[1,0]
	v_pk_fma_f32 v[28:29], v[46:47], v[2:3], v[0:1] op_sel:[0,0,1] op_sel_hi:[1,1,0]
	v_pk_fma_f32 v[30:31], v[46:47], v[2:3], v[0:1] op_sel:[0,0,1] op_sel_hi:[0,1,0] neg_lo:[0,0,1] neg_hi:[0,0,1]
	ds_read2_b64 v[0:3], v58 offset1:49
	v_pk_fma_f32 v[34:35], v[40:41], v[6:7], v[32:33] op_sel:[0,0,1] op_sel_hi:[1,1,0]
	v_pk_fma_f32 v[6:7], v[40:41], v[6:7], v[32:33] op_sel:[0,0,1] op_sel_hi:[0,1,0] neg_lo:[0,0,1] neg_hi:[0,0,1]
	v_mov_b32_e32 v35, v7
	v_mov_b32_e32 v19, v17
	s_waitcnt lgkmcnt(0)
	v_pk_add_f32 v[32:33], v[0:1], v[34:35] neg_lo:[0,1] neg_hi:[0,1]
	v_pk_add_f32 v[10:11], v[2:3], v[10:11] neg_lo:[0,1] neg_hi:[0,1]
	v_pk_fma_f32 v[34:35], v[0:1], 2.0, v[32:33] op_sel_hi:[1,0,1] neg_lo:[0,0,1] neg_hi:[0,0,1]
	v_pk_fma_f32 v[36:37], v[2:3], 2.0, v[10:11] op_sel_hi:[1,0,1] neg_lo:[0,0,1] neg_hi:[0,0,1]
	ds_read2_b64 v[0:3], v58 offset0:98 offset1:147
	ds_read2_b64 v[6:9], v58 offset0:196 offset1:245
	ds_write2_b64 v58, v[34:35], v[36:37] offset1:49
	v_mov_b32_e32 v21, v23
	v_mov_b32_e32 v27, v25
	s_waitcnt lgkmcnt(2)
	v_pk_add_f32 v[12:13], v[0:1], v[12:13] neg_lo:[0,1] neg_hi:[0,1]
	ds_write2_b64 v110, v[10:11], v[12:13] offset0:136 offset1:185
	v_pk_add_f32 v[10:11], v[2:3], v[18:19] neg_lo:[0,1] neg_hi:[0,1]
	v_pk_fma_f32 v[0:1], v[0:1], 2.0, v[12:13] op_sel_hi:[1,0,1] neg_lo:[0,0,1] neg_hi:[0,0,1]
	v_pk_fma_f32 v[2:3], v[2:3], 2.0, v[10:11] op_sel_hi:[1,0,1] neg_lo:[0,0,1] neg_hi:[0,0,1]
	v_mov_b32_e32 v29, v31
	ds_write2_b64 v58, v[0:1], v[2:3] offset0:98 offset1:147
	s_waitcnt lgkmcnt(3)
	v_pk_add_f32 v[0:1], v[6:7], v[20:21] neg_lo:[0,1] neg_hi:[0,1]
	v_pk_add_f32 v[2:3], v[8:9], v[26:27] neg_lo:[0,1] neg_hi:[0,1]
	;; [unrolled: 1-line block ×3, first 2 shown]
	v_pk_fma_f32 v[6:7], v[6:7], 2.0, v[0:1] op_sel_hi:[1,0,1] neg_lo:[0,0,1] neg_hi:[0,0,1]
	v_pk_fma_f32 v[8:9], v[8:9], 2.0, v[2:3] op_sel_hi:[1,0,1] neg_lo:[0,0,1] neg_hi:[0,0,1]
	;; [unrolled: 1-line block ×3, first 2 shown]
	ds_write_b64 v58, v[32:33] offset:2744
	ds_write2_b64 v109, v[10:11], v[0:1] offset0:106 offset1:155
	ds_write2_b64 v58, v[6:7], v[8:9] offset0:196 offset1:245
	ds_write_b64 v58, v[4:5] offset:2352
	ds_write2_b64 v108, v[2:3], v[12:13] offset0:76 offset1:125
	s_waitcnt lgkmcnt(0)
	; wave barrier
	s_waitcnt lgkmcnt(0)
	ds_read2_b64 v[0:3], v58 offset1:49
	v_mov_b32_e32 v8, s0
	v_mov_b32_e32 v9, s1
	s_mov_b32 s0, 0x515a4f1d
	s_mov_b32 s1, 0x3f57e225
	s_waitcnt lgkmcnt(0)
	v_mul_f32_e32 v4, v81, v1
	v_fmac_f32_e32 v4, v80, v0
	v_mul_f32_e32 v0, v81, v0
	v_fma_f32 v0, v80, v1, -v0
	v_cvt_f64_f32_e32 v[0:1], v0
	v_cvt_f64_f32_e32 v[4:5], v4
	v_mul_f64 v[0:1], v[0:1], s[0:1]
	v_mul_f64 v[4:5], v[4:5], s[0:1]
	v_cvt_f32_f64_e32 v11, v[0:1]
	v_mad_u64_u32 v[0:1], s[2:3], s4, v72, 0
	v_cvt_f32_f64_e32 v10, v[4:5]
	v_mov_b32_e32 v4, v1
	v_mad_u64_u32 v[12:13], s[2:3], s5, v72, v[4:5]
	ds_read2_b64 v[4:7], v58 offset0:98 offset1:147
	v_mov_b32_e32 v1, v12
	v_lshl_add_u64 v[8:9], v[64:65], 3, v[8:9]
	v_lshl_add_u64 v[0:1], v[0:1], 3, v[8:9]
	global_store_dwordx2 v[0:1], v[10:11], off
	s_waitcnt lgkmcnt(0)
	v_mul_f32_e32 v8, v75, v5
	v_fmac_f32_e32 v8, v74, v4
	v_cvt_f64_f32_e32 v[8:9], v8
	v_mul_f64 v[8:9], v[8:9], s[0:1]
	v_cvt_f32_f64_e32 v12, v[8:9]
	ds_read2_b64 v[8:11], v58 offset0:196 offset1:245
	v_mul_f32_e32 v4, v75, v4
	v_fma_f32 v4, v74, v5, -v4
	v_cvt_f64_f32_e32 v[4:5], v4
	v_mul_f64 v[4:5], v[4:5], s[0:1]
	v_cvt_f32_f64_e32 v13, v[4:5]
	s_waitcnt lgkmcnt(0)
	v_mul_f32_e32 v4, v71, v9
	v_mad_u64_u32 v[0:1], s[2:3], s4, v77, v[0:1]
	v_fmac_f32_e32 v4, v70, v8
	s_mul_i32 s2, s5, 0x310
	v_cvt_f64_f32_e32 v[4:5], v4
	v_add_u32_e32 v1, s2, v1
	v_mul_f64 v[4:5], v[4:5], s[0:1]
	global_store_dwordx2 v[0:1], v[12:13], off
	v_cvt_f32_f64_e32 v4, v[4:5]
	v_mul_f32_e32 v5, v71, v8
	ds_read2_b64 v[12:15], v110 offset0:38 offset1:87
	v_fma_f32 v5, v70, v9, -v5
	v_cvt_f64_f32_e32 v[8:9], v5
	v_mul_f64 v[8:9], v[8:9], s[0:1]
	v_mad_u64_u32 v[0:1], s[6:7], s4, v77, v[0:1]
	v_cvt_f32_f64_e32 v5, v[8:9]
	v_add_u32_e32 v1, s2, v1
	global_store_dwordx2 v[0:1], v[4:5], off
	s_waitcnt lgkmcnt(0)
	v_mul_f32_e32 v4, v69, v13
	v_fmac_f32_e32 v4, v68, v12
	v_cvt_f64_f32_e32 v[4:5], v4
	v_mul_f64 v[4:5], v[4:5], s[0:1]
	v_cvt_f32_f64_e32 v4, v[4:5]
	v_mul_f32_e32 v5, v69, v12
	ds_read2_b64 v[16:19], v110 offset0:136 offset1:185
	v_fma_f32 v5, v68, v13, -v5
	v_cvt_f64_f32_e32 v[8:9], v5
	v_mul_f64 v[8:9], v[8:9], s[0:1]
	v_mad_u64_u32 v[0:1], s[6:7], s4, v77, v[0:1]
	v_cvt_f32_f64_e32 v5, v[8:9]
	v_add_u32_e32 v1, s2, v1
	global_store_dwordx2 v[0:1], v[4:5], off
	s_waitcnt lgkmcnt(0)
	v_mul_f32_e32 v4, v67, v17
	v_fmac_f32_e32 v4, v66, v16
	v_cvt_f64_f32_e32 v[4:5], v4
	v_mul_f64 v[4:5], v[4:5], s[0:1]
	;; [unrolled: 15-line block ×4, first 2 shown]
	v_cvt_f32_f64_e32 v4, v[4:5]
	v_mul_f32_e32 v5, v61, v24
	v_fma_f32 v5, v60, v25, -v5
	v_cvt_f64_f32_e32 v[8:9], v5
	v_mul_f64 v[8:9], v[8:9], s[0:1]
	v_mad_u64_u32 v[0:1], s[6:7], s4, v77, v[0:1]
	v_cvt_f32_f64_e32 v5, v[8:9]
	v_add_u32_e32 v1, s2, v1
	global_store_dwordx2 v[0:1], v[4:5], off
	v_mul_f32_e32 v4, v91, v3
	v_fmac_f32_e32 v4, v90, v2
	v_mul_f32_e32 v2, v91, v2
	v_fma_f32 v2, v90, v3, -v2
	v_cvt_f64_f32_e32 v[4:5], v4
	v_cvt_f64_f32_e32 v[2:3], v2
	v_mul_f64 v[4:5], v[4:5], s[0:1]
	v_mul_f64 v[2:3], v[2:3], s[0:1]
	v_cvt_f32_f64_e32 v4, v[4:5]
	v_cvt_f32_f64_e32 v5, v[2:3]
	v_mul_f32_e32 v2, v87, v7
	v_fmac_f32_e32 v2, v86, v6
	v_cvt_f64_f32_e32 v[2:3], v2
	s_mul_i32 s3, s5, 0xffffef28
	v_mul_f64 v[2:3], v[2:3], s[0:1]
	v_mad_u64_u32 v[0:1], s[6:7], s4, v59, v[0:1]
	s_sub_i32 s3, s3, s4
	v_cvt_f32_f64_e32 v2, v[2:3]
	v_mul_f32_e32 v3, v87, v6
	v_add_u32_e32 v1, s3, v1
	v_fma_f32 v3, v86, v7, -v3
	global_store_dwordx2 v[0:1], v[4:5], off
	v_cvt_f64_f32_e32 v[4:5], v3
	v_mul_f64 v[4:5], v[4:5], s[0:1]
	v_mad_u64_u32 v[0:1], s[6:7], s4, v77, v[0:1]
	v_cvt_f32_f64_e32 v3, v[4:5]
	v_add_u32_e32 v1, s2, v1
	global_store_dwordx2 v[0:1], v[2:3], off
	v_mul_f32_e32 v2, v93, v11
	v_fmac_f32_e32 v2, v92, v10
	v_cvt_f64_f32_e32 v[2:3], v2
	v_mul_f64 v[2:3], v[2:3], s[0:1]
	v_cvt_f32_f64_e32 v2, v[2:3]
	v_mul_f32_e32 v3, v93, v10
	v_fma_f32 v3, v92, v11, -v3
	v_cvt_f64_f32_e32 v[4:5], v3
	v_mul_f64 v[4:5], v[4:5], s[0:1]
	v_mad_u64_u32 v[0:1], s[6:7], s4, v77, v[0:1]
	v_cvt_f32_f64_e32 v3, v[4:5]
	v_add_u32_e32 v1, s2, v1
	global_store_dwordx2 v[0:1], v[2:3], off
	v_mul_f32_e32 v2, v89, v15
	v_fmac_f32_e32 v2, v88, v14
	v_cvt_f64_f32_e32 v[2:3], v2
	v_mul_f64 v[2:3], v[2:3], s[0:1]
	v_cvt_f32_f64_e32 v2, v[2:3]
	v_mul_f32_e32 v3, v89, v14
	v_fma_f32 v3, v88, v15, -v3
	;; [unrolled: 13-line block ×5, first 2 shown]
	v_cvt_f64_f32_e32 v[4:5], v3
	v_mul_f64 v[4:5], v[4:5], s[0:1]
	v_mad_u64_u32 v[0:1], s[0:1], s4, v77, v[0:1]
	v_cvt_f32_f64_e32 v3, v[4:5]
	v_add_u32_e32 v1, s2, v1
	global_store_dwordx2 v[0:1], v[2:3], off
.LBB0_2:
	s_endpgm
	.section	.rodata,"a",@progbits
	.p2align	6, 0x0
	.amdhsa_kernel bluestein_single_fwd_len686_dim1_sp_op_CI_CI
		.amdhsa_group_segment_fixed_size 5488
		.amdhsa_private_segment_fixed_size 0
		.amdhsa_kernarg_size 104
		.amdhsa_user_sgpr_count 2
		.amdhsa_user_sgpr_dispatch_ptr 0
		.amdhsa_user_sgpr_queue_ptr 0
		.amdhsa_user_sgpr_kernarg_segment_ptr 1
		.amdhsa_user_sgpr_dispatch_id 0
		.amdhsa_user_sgpr_kernarg_preload_length 0
		.amdhsa_user_sgpr_kernarg_preload_offset 0
		.amdhsa_user_sgpr_private_segment_size 0
		.amdhsa_uses_dynamic_stack 0
		.amdhsa_enable_private_segment 0
		.amdhsa_system_sgpr_workgroup_id_x 1
		.amdhsa_system_sgpr_workgroup_id_y 0
		.amdhsa_system_sgpr_workgroup_id_z 0
		.amdhsa_system_sgpr_workgroup_info 0
		.amdhsa_system_vgpr_workitem_id 0
		.amdhsa_next_free_vgpr 150
		.amdhsa_next_free_sgpr 22
		.amdhsa_accum_offset 152
		.amdhsa_reserve_vcc 1
		.amdhsa_float_round_mode_32 0
		.amdhsa_float_round_mode_16_64 0
		.amdhsa_float_denorm_mode_32 3
		.amdhsa_float_denorm_mode_16_64 3
		.amdhsa_dx10_clamp 1
		.amdhsa_ieee_mode 1
		.amdhsa_fp16_overflow 0
		.amdhsa_tg_split 0
		.amdhsa_exception_fp_ieee_invalid_op 0
		.amdhsa_exception_fp_denorm_src 0
		.amdhsa_exception_fp_ieee_div_zero 0
		.amdhsa_exception_fp_ieee_overflow 0
		.amdhsa_exception_fp_ieee_underflow 0
		.amdhsa_exception_fp_ieee_inexact 0
		.amdhsa_exception_int_div_zero 0
	.end_amdhsa_kernel
	.text
.Lfunc_end0:
	.size	bluestein_single_fwd_len686_dim1_sp_op_CI_CI, .Lfunc_end0-bluestein_single_fwd_len686_dim1_sp_op_CI_CI
                                        ; -- End function
	.section	.AMDGPU.csdata,"",@progbits
; Kernel info:
; codeLenInByte = 12660
; NumSgprs: 28
; NumVgprs: 150
; NumAgprs: 0
; TotalNumVgprs: 150
; ScratchSize: 0
; MemoryBound: 0
; FloatMode: 240
; IeeeMode: 1
; LDSByteSize: 5488 bytes/workgroup (compile time only)
; SGPRBlocks: 3
; VGPRBlocks: 18
; NumSGPRsForWavesPerEU: 28
; NumVGPRsForWavesPerEU: 150
; AccumOffset: 152
; Occupancy: 3
; WaveLimiterHint : 1
; COMPUTE_PGM_RSRC2:SCRATCH_EN: 0
; COMPUTE_PGM_RSRC2:USER_SGPR: 2
; COMPUTE_PGM_RSRC2:TRAP_HANDLER: 0
; COMPUTE_PGM_RSRC2:TGID_X_EN: 1
; COMPUTE_PGM_RSRC2:TGID_Y_EN: 0
; COMPUTE_PGM_RSRC2:TGID_Z_EN: 0
; COMPUTE_PGM_RSRC2:TIDIG_COMP_CNT: 0
; COMPUTE_PGM_RSRC3_GFX90A:ACCUM_OFFSET: 37
; COMPUTE_PGM_RSRC3_GFX90A:TG_SPLIT: 0
	.text
	.p2alignl 6, 3212836864
	.fill 256, 4, 3212836864
	.type	__hip_cuid_80d637aa7534a7ed,@object ; @__hip_cuid_80d637aa7534a7ed
	.section	.bss,"aw",@nobits
	.globl	__hip_cuid_80d637aa7534a7ed
__hip_cuid_80d637aa7534a7ed:
	.byte	0                               ; 0x0
	.size	__hip_cuid_80d637aa7534a7ed, 1

	.ident	"AMD clang version 19.0.0git (https://github.com/RadeonOpenCompute/llvm-project roc-6.4.0 25133 c7fe45cf4b819c5991fe208aaa96edf142730f1d)"
	.section	".note.GNU-stack","",@progbits
	.addrsig
	.addrsig_sym __hip_cuid_80d637aa7534a7ed
	.amdgpu_metadata
---
amdhsa.kernels:
  - .agpr_count:     0
    .args:
      - .actual_access:  read_only
        .address_space:  global
        .offset:         0
        .size:           8
        .value_kind:     global_buffer
      - .actual_access:  read_only
        .address_space:  global
        .offset:         8
        .size:           8
        .value_kind:     global_buffer
      - .actual_access:  read_only
        .address_space:  global
        .offset:         16
        .size:           8
        .value_kind:     global_buffer
      - .actual_access:  read_only
        .address_space:  global
        .offset:         24
        .size:           8
        .value_kind:     global_buffer
      - .actual_access:  read_only
        .address_space:  global
        .offset:         32
        .size:           8
        .value_kind:     global_buffer
      - .offset:         40
        .size:           8
        .value_kind:     by_value
      - .address_space:  global
        .offset:         48
        .size:           8
        .value_kind:     global_buffer
      - .address_space:  global
        .offset:         56
        .size:           8
        .value_kind:     global_buffer
      - .address_space:  global
        .offset:         64
        .size:           8
        .value_kind:     global_buffer
      - .address_space:  global
        .offset:         72
        .size:           8
        .value_kind:     global_buffer
      - .offset:         80
        .size:           4
        .value_kind:     by_value
      - .address_space:  global
        .offset:         88
        .size:           8
        .value_kind:     global_buffer
      - .address_space:  global
        .offset:         96
        .size:           8
        .value_kind:     global_buffer
    .group_segment_fixed_size: 5488
    .kernarg_segment_align: 8
    .kernarg_segment_size: 104
    .language:       OpenCL C
    .language_version:
      - 2
      - 0
    .max_flat_workgroup_size: 49
    .name:           bluestein_single_fwd_len686_dim1_sp_op_CI_CI
    .private_segment_fixed_size: 0
    .sgpr_count:     28
    .sgpr_spill_count: 0
    .symbol:         bluestein_single_fwd_len686_dim1_sp_op_CI_CI.kd
    .uniform_work_group_size: 1
    .uses_dynamic_stack: false
    .vgpr_count:     150
    .vgpr_spill_count: 0
    .wavefront_size: 64
amdhsa.target:   amdgcn-amd-amdhsa--gfx950
amdhsa.version:
  - 1
  - 2
...

	.end_amdgpu_metadata
